;; amdgpu-corpus repo=ROCm/aiter kind=harvested arch=n/a opt=n/a

/root/src/amdgpu-assembly/repos/ROCm__aiter/hsa/gfx950/topksoftmax/topksoftmax_4x384x8_bf16.co:	file format elf64-amdgpu

Disassembly of section .text:

0000000000001c00 <_ZN5aiter24topksoftmax_4x384x8_bf16E>:
	s_and_b32 s1, s1, 0xffff                                   // 000000001C00: 8601FF01 0000FFFF
	s_load_dwordx2 s[4:5], s[0:1], 0x0                         // 000000001C08: C0060100 00000000
	s_load_dwordx2 s[8:9], s[0:1], 0x10                        // 000000001C10: C0060200 00000010
	s_load_dwordx2 s[12:13], s[0:1], 0x20                      // 000000001C18: C0060300 00000020
	s_load_dword s16, s[0:1], 0x30                             // 000000001C20: C0020400 00000030
	s_load_dword s17, s[0:1], 0x40                             // 000000001C28: C0020440 00000040
	s_load_dword s18, s[0:1], 0x50                             // 000000001C30: C0020480 00000050
	s_load_dword s66, s[0:1], 0x60                             // 000000001C38: C0021080 00000060
	s_load_dword s67, s[0:1], 0x70                             // 000000001C40: C00210C0 00000070
	v_lshrrev_b32_e32 v1, 10, v0                               // 000000001C48: 2002008A
	v_lshrrev_b32_e32 v2, 10, v1                               // 000000001C4C: 2004028A
	v_and_b32_e32 v2, 0x3ff, v2                                // 000000001C50: 260404FF 000003FF
	v_and_b32_e32 v1, 0x3ff, v1                                // 000000001C58: 260202FF 000003FF
	v_and_b32_e32 v0, 0x3ff, v0                                // 000000001C60: 260000FF 000003FF
	v_lshrrev_b32_e32 v3, 6, v0                                // 000000001C68: 20060086
	v_and_b32_e32 v0, 63, v0                                   // 000000001C6C: 260000BF
	s_mov_b32 s19, s2                                          // 000000001C70: BE930002
	v_readfirstlane_b32 s64, v3                                // 000000001C74: 7E800503
	s_waitcnt lgkmcnt(0)                                       // 000000001C78: BF8CC07F
	s_mov_b32 s6, -16                                          // 000000001C7C: BE8600D0
	s_mov_b32 s10, -16                                         // 000000001C80: BE8A00D0
	s_mov_b32 s14, -16                                         // 000000001C84: BE8E00D0
	s_mov_b32 s7, 0x20000                                      // 000000001C88: BE8700FF 00020000
	s_mov_b32 s11, 0x20000                                     // 000000001C90: BE8B00FF 00020000
	s_mov_b32 s15, 0x20000                                     // 000000001C98: BE8F00FF 00020000
	s_and_b32 s5, s5, 0xffff                                   // 000000001CA0: 8605FF05 0000FFFF
	s_and_b32 s9, s9, 0xffff                                   // 000000001CA8: 8609FF09 0000FFFF
	s_and_b32 s13, s13, 0xffff                                 // 000000001CB0: 860DFF0D 0000FFFF
	s_or_b32 s5, s5, 0x40000                                   // 000000001CB8: 8705FF05 00040000
	s_or_b32 s9, s9, 0x40000                                   // 000000001CC0: 8709FF09 00040000
	s_or_b32 s13, s13, 0x40000                                 // 000000001CC8: 870DFF0D 00040000
	s_mul_i32 s20, s16, s17                                    // 000000001CD0: 92141110
	s_mul_i32 s20, s20, 2                                      // 000000001CD4: 92148214
	s_mov_b32 s14, s20                                         // 000000001CD8: BE8E0014
	v_lshlrev_b32_e32 v8, 1, v0                                // 000000001CDC: 24100081
	s_mul_i32 s20, s17, 2                                      // 000000001CE0: 92148211
	s_mul_i32 s21, s19, 4                                      // 000000001CE4: 92158413
	s_add_i32 s21, s21, s64                                    // 000000001CE8: 81154015
	s_mul_i32 s20, s20, s21                                    // 000000001CEC: 92141514
	v_add_u32_e32 v8, s20, v8                                  // 000000001CF0: 68101014
	buffer_load_short_d16 v11, v8, s[12:15], 0 offen           // 000000001CF4: E0901000 80030B08
	buffer_load_short_d16 v12, v8, s[12:15], 0 offen offset:128// 000000001CFC: E0901080 80030C08
	buffer_load_short_d16 v13, v8, s[12:15], 0 offen offset:256// 000000001D04: E0901100 80030D08
	buffer_load_short_d16 v14, v8, s[12:15], 0 offen offset:384// 000000001D0C: E0901180 80030E08
	buffer_load_short_d16 v15, v8, s[12:15], 0 offen offset:512// 000000001D14: E0901200 80030F08
	buffer_load_short_d16 v16, v8, s[12:15], 0 offen offset:640// 000000001D1C: E0901280 80031008
	v_mov_b32_e32 v19, 0                                       // 000000001D24: 7E260280
	v_mov_b32_e32 v20, 0                                       // 000000001D28: 7E280280
	v_mov_b32_e32 v21, 0                                       // 000000001D2C: 7E2A0280
	v_mov_b32_e32 v22, 0                                       // 000000001D30: 7E2C0280
	v_mov_b32_e32 v17, 0                                       // 000000001D34: 7E220280
	v_mov_b32_e32 v18, 0                                       // 000000001D38: 7E240280
	v_mov_b32_e32 v23, 0                                       // 000000001D3C: 7E2E0280
	s_mov_b32 s18, 8                                           // 000000001D40: BE920088
	v_lshlrev_b32_e32 v9, 2, v0                                // 000000001D44: 24120082
	s_mov_b32 s20, s67                                         // 000000001D48: BE940043
	s_mul_i32 s21, s19, 4                                      // 000000001D4C: 92158413
	s_add_i32 s21, s21, s64                                    // 000000001D50: 81154015
	s_mul_i32 s20, s20, s21                                    // 000000001D54: 92141514
	v_add_u32_e32 v9, s20, v9                                  // 000000001D58: 68121214
	v_mov_b32_e32 v10, v9                                      // 000000001D5C: 7E140309
	s_mul_i32 s20, s16, s67                                    // 000000001D60: 92144310
	s_mov_b32 s6, s20                                          // 000000001D64: BE860014
	s_mov_b32 s10, s20                                         // 000000001D68: BE8A0014
	s_mov_b32 s65, 0x3fb8aa3b                                  // 000000001D6C: BEC100FF 3FB8AA3B
	s_mov_b32 s48, 0                                           // 000000001D74: BEB00080
	s_mov_b32 s56, 1                                           // 000000001D78: BEB80081
	s_mov_b32 s49, 0                                           // 000000001D7C: BEB10080
	s_mov_b32 s57, 1                                           // 000000001D80: BEB90081
	s_mov_b32 s50, 0                                           // 000000001D84: BEB20080
	s_mov_b32 s58, 1                                           // 000000001D88: BEBA0081
	s_mov_b32 s51, 0                                           // 000000001D8C: BEB30080
	s_mov_b32 s59, 1                                           // 000000001D90: BEBB0081
	s_mov_b32 s52, 0                                           // 000000001D94: BEB40080
	s_mov_b32 s60, 1                                           // 000000001D98: BEBC0081
	s_mov_b32 s53, 0                                           // 000000001D9C: BEB50080
	s_mov_b32 s61, 1                                           // 000000001DA0: BEBD0081
	s_mov_b32 s54, 0                                           // 000000001DA4: BEB60080
	s_mov_b32 s62, 1                                           // 000000001DA8: BEBE0081
	s_mov_b32 s55, 0                                           // 000000001DAC: BEB70080
	s_mov_b32 s63, 1                                           // 000000001DB0: BEBF0081
	s_waitcnt vmcnt(0) expcnt(0) lgkmcnt(0)                    // 000000001DB4: BF8C0000
	v_lshlrev_b32_e32 v11, 16, v11                             // 000000001DB8: 24161690
	v_lshlrev_b32_e32 v12, 16, v12                             // 000000001DBC: 24181890
	v_lshlrev_b32_e32 v13, 16, v13                             // 000000001DC0: 241A1A90
	v_lshlrev_b32_e32 v14, 16, v14                             // 000000001DC4: 241C1C90
	v_lshlrev_b32_e32 v15, 16, v15                             // 000000001DC8: 241E1E90
	v_lshlrev_b32_e32 v16, 16, v16                             // 000000001DCC: 24202090
	v_mul_f32_e64 v11, v11, s65                                // 000000001DD0: D105000B 0000830B
	v_exp_f32_e32 v11, v11                                     // 000000001DD8: 7E16410B
	v_mul_f32_e64 v12, v12, s65                                // 000000001DDC: D105000C 0000830C
	v_exp_f32_e32 v12, v12                                     // 000000001DE4: 7E18410C
	v_mul_f32_e64 v13, v13, s65                                // 000000001DE8: D105000D 0000830D
	v_exp_f32_e32 v13, v13                                     // 000000001DF0: 7E1A410D
	v_mul_f32_e64 v14, v14, s65                                // 000000001DF4: D105000E 0000830E
	v_exp_f32_e32 v14, v14                                     // 000000001DFC: 7E1C410E
	v_mul_f32_e64 v15, v15, s65                                // 000000001E00: D105000F 0000830F
	v_exp_f32_e32 v15, v15                                     // 000000001E08: 7E1E410F
	v_mul_f32_e64 v16, v16, s65                                // 000000001E0C: D1050010 00008310
	v_exp_f32_e32 v16, v16                                     // 000000001E14: 7E204110
	s_nop 0                                                    // 000000001E18: BF800000
	v_add_f32_e32 v19, v19, v11                                // 000000001E1C: 02261713
	v_add_f32_e32 v19, v19, v12                                // 000000001E20: 02261913
	v_add_f32_e32 v19, v19, v13                                // 000000001E24: 02261B13
	v_add_f32_e32 v19, v19, v14                                // 000000001E28: 02261D13
	v_add_f32_e32 v19, v19, v15                                // 000000001E2C: 02261F13
	v_add_f32_e32 v19, v19, v16                                // 000000001E30: 02262113
	s_nop 1                                                    // 000000001E34: BF800001
	v_add_f32_dpp v4, v19, v19 quad_perm:[1,0,3,2] row_mask:0xf bank_mask:0xf// 000000001E38: 020826FA FF00B113
	s_nop 1                                                    // 000000001E40: BF800001
	v_add_f32_dpp v4, v4, v4 quad_perm:[2,3,0,1] row_mask:0xf bank_mask:0xf// 000000001E44: 020808FA FF004E04
	s_nop 1                                                    // 000000001E4C: BF800001
	v_add_f32_dpp v4, v4, v4 row_shr:4 row_mask:0xf bank_mask:0xf// 000000001E50: 020808FA FF011404
	s_nop 1                                                    // 000000001E58: BF800001
	v_add_f32_dpp v4, v4, v4 row_shr:8 row_mask:0xf bank_mask:0xf// 000000001E5C: 020808FA FF011804
	s_nop 1                                                    // 000000001E64: BF800001
	v_add_f32_dpp v4, v4, v4 row_bcast:15 row_mask:0xf bank_mask:0xf// 000000001E68: 020808FA FF014204
	s_nop 1                                                    // 000000001E70: BF800001
	v_add_f32_dpp v4, v4, v4 row_bcast:31 row_mask:0xf bank_mask:0xf// 000000001E74: 020808FA FF014304
	s_nop 0                                                    // 000000001E7C: BF800000
	v_readlane_b32 s20, v4, 63                                 // 000000001E80: D2890014 00017F04
	v_mov_b32_e32 v20, s20                                     // 000000001E88: 7E280214
	v_rcp_f32_e32 v19, v20                                     // 000000001E8C: 7E264514
	s_nop 0                                                    // 000000001E90: BF800000
	v_mul_f32_e32 v11, v11, v19                                // 000000001E94: 0A16270B
	v_mul_f32_e32 v12, v12, v19                                // 000000001E98: 0A18270C
	v_mul_f32_e32 v13, v13, v19                                // 000000001E9C: 0A1A270D
	v_mul_f32_e32 v14, v14, v19                                // 000000001EA0: 0A1C270E
	v_mul_f32_e32 v15, v15, v19                                // 000000001EA4: 0A1E270F
	v_mul_f32_e32 v16, v16, v19                                // 000000001EA8: 0A202710
	s_cmp_eq_u32 s66, 0                                        // 000000001EAC: BF068042
	s_cbranch_scc0 label_036B                                  // 000000001EB0: BF8402BE
	v_max_f32_e32 v21, v11, v12                                // 000000001EB4: 162A190B
	v_max3_f32 v21, v21, v13, v14                              // 000000001EB8: D1D30015 043A1B15
	v_max3_f32 v21, v21, v15, v16                              // 000000001EC0: D1D30015 04421F15
	s_nop 1                                                    // 000000001EC8: BF800001
	v_max_f32_dpp v4, v21, v21 quad_perm:[1,0,3,2] row_mask:0xf bank_mask:0xf// 000000001ECC: 16082AFA FF00B115
	s_nop 1                                                    // 000000001ED4: BF800001
	v_max_f32_dpp v4, v4, v4 quad_perm:[2,3,0,1] row_mask:0xf bank_mask:0xf// 000000001ED8: 160808FA FF004E04
	s_nop 1                                                    // 000000001EE0: BF800001
	v_max_f32_dpp v4, v4, v4 row_shr:4 row_mask:0xf bank_mask:0xf// 000000001EE4: 160808FA FF011404
	s_nop 1                                                    // 000000001EEC: BF800001
	v_max_f32_dpp v4, v4, v4 row_shr:8 row_mask:0xf bank_mask:0xf// 000000001EF0: 160808FA FF011804
	s_nop 1                                                    // 000000001EF8: BF800001
	v_max_f32_dpp v4, v4, v4 row_bcast:15 row_mask:0xf bank_mask:0xf// 000000001EFC: 160808FA FF014204
	s_nop 1                                                    // 000000001F04: BF800001
	v_max_f32_dpp v4, v4, v4 row_bcast:31 row_mask:0xf bank_mask:0xf// 000000001F08: 160808FA FF014304
	s_nop 0                                                    // 000000001F10: BF800000
	v_readlane_b32 s20, v4, 63                                 // 000000001F14: D2890014 00017F04
	v_mov_b32_e32 v21, s20                                     // 000000001F1C: 7E2A0214
	v_cmp_eq_f32_e64 s[24:25], v21, v11                        // 000000001F20: D0420018 00021715
	v_cmp_eq_f32_e64 s[26:27], v21, v12                        // 000000001F28: D042001A 00021915
	v_cmp_eq_f32_e64 s[28:29], v21, v13                        // 000000001F30: D042001C 00021B15
	v_cmp_eq_f32_e64 s[30:31], v21, v14                        // 000000001F38: D042001E 00021D15
	v_cmp_eq_f32_e64 s[32:33], v21, v15                        // 000000001F40: D0420020 00021F15
	v_cmp_eq_f32_e64 s[34:35], v21, v16                        // 000000001F48: D0420022 00022115
	s_ff1_i32_b64 s36, s[24:25]                                // 000000001F50: BEA41118
	s_ff1_i32_b64 s37, s[26:27]                                // 000000001F54: BEA5111A
	s_ff1_i32_b64 s38, s[28:29]                                // 000000001F58: BEA6111C
	s_ff1_i32_b64 s39, s[30:31]                                // 000000001F5C: BEA7111E
	s_ff1_i32_b64 s40, s[32:33]                                // 000000001F60: BEA81120
	s_ff1_i32_b64 s41, s[34:35]                                // 000000001F64: BEA91122
	v_readlane_b32 s20, v21, 0                                 // 000000001F68: D2890014 00010115
	v_writelane_b32 v18, s20, 0                                // 000000001F70: D28A0012 00010014
	s_mov_b32 s22, s36                                         // 000000001F78: BE960024
	s_cmp_eq_u32 s36, -1                                       // 000000001F7C: BF06C124
	s_cselect_b32 s21, 1, 0                                    // 000000001F80: 85158081
	s_cbranch_scc0 label_00FC                                  // 000000001F84: BF84001A
	s_add_u32 s48, s21, s48                                    // 000000001F88: 80303015
	s_mov_b32 s22, s37                                         // 000000001F8C: BE960025
	s_cmp_eq_u32 s37, -1                                       // 000000001F90: BF06C125
	s_cselect_b32 s21, 1, 0                                    // 000000001F94: 85158081
	s_cbranch_scc0 label_00FC                                  // 000000001F98: BF840015
	s_add_u32 s48, s21, s48                                    // 000000001F9C: 80303015
	s_mov_b32 s22, s38                                         // 000000001FA0: BE960026
	s_cmp_eq_u32 s38, -1                                       // 000000001FA4: BF06C126
	s_cselect_b32 s21, 1, 0                                    // 000000001FA8: 85158081
	s_cbranch_scc0 label_00FC                                  // 000000001FAC: BF840010
	s_add_u32 s48, s21, s48                                    // 000000001FB0: 80303015
	s_mov_b32 s22, s39                                         // 000000001FB4: BE960027
	s_cmp_eq_u32 s39, -1                                       // 000000001FB8: BF06C127
	s_cselect_b32 s21, 1, 0                                    // 000000001FBC: 85158081
	s_cbranch_scc0 label_00FC                                  // 000000001FC0: BF84000B
	s_add_u32 s48, s21, s48                                    // 000000001FC4: 80303015
	s_mov_b32 s22, s40                                         // 000000001FC8: BE960028
	s_cmp_eq_u32 s40, -1                                       // 000000001FCC: BF06C128
	s_cselect_b32 s21, 1, 0                                    // 000000001FD0: 85158081
	s_cbranch_scc0 label_00FC                                  // 000000001FD4: BF840006
	s_add_u32 s48, s21, s48                                    // 000000001FD8: 80303015
	s_mov_b32 s22, s41                                         // 000000001FDC: BE960029
	s_cmp_eq_u32 s41, -1                                       // 000000001FE0: BF06C129
	s_cselect_b32 s21, 1, 0                                    // 000000001FE4: 85158081
	s_cbranch_scc0 label_00FC                                  // 000000001FE8: BF840001
	s_add_u32 s48, s21, s48                                    // 000000001FEC: 80303015

0000000000001ff0 <label_00FC>:
	s_set_gpr_idx_on s48, gpr_idx(DST)                         // 000000001FF0: BF110830
	v_writelane_b32 v11, 0, s22                                // 000000001FF4: D28A000B 00002C80
	s_set_gpr_idx_off                                          // 000000001FFC: BF9C0000
	s_mul_i32 s48, 64, s48                                     // 000000002000: 923030C0
	s_add_u32 s48, s22, s48                                    // 000000002004: 80303016
	v_writelane_b32 v17, s48, 0                                // 000000002008: D28A0011 00010030
	v_max_f32_e32 v21, v11, v12                                // 000000002010: 162A190B
	v_max3_f32 v21, v21, v13, v14                              // 000000002014: D1D30015 043A1B15
	v_max3_f32 v21, v21, v15, v16                              // 00000000201C: D1D30015 04421F15
	s_nop 1                                                    // 000000002024: BF800001
	v_max_f32_dpp v4, v21, v21 quad_perm:[1,0,3,2] row_mask:0xf bank_mask:0xf// 000000002028: 16082AFA FF00B115
	s_nop 1                                                    // 000000002030: BF800001
	v_max_f32_dpp v4, v4, v4 quad_perm:[2,3,0,1] row_mask:0xf bank_mask:0xf// 000000002034: 160808FA FF004E04
	s_nop 1                                                    // 00000000203C: BF800001
	v_max_f32_dpp v4, v4, v4 row_shr:4 row_mask:0xf bank_mask:0xf// 000000002040: 160808FA FF011404
	s_nop 1                                                    // 000000002048: BF800001
	v_max_f32_dpp v4, v4, v4 row_shr:8 row_mask:0xf bank_mask:0xf// 00000000204C: 160808FA FF011804
	s_nop 1                                                    // 000000002054: BF800001
	v_max_f32_dpp v4, v4, v4 row_bcast:15 row_mask:0xf bank_mask:0xf// 000000002058: 160808FA FF014204
	s_nop 1                                                    // 000000002060: BF800001
	v_max_f32_dpp v4, v4, v4 row_bcast:31 row_mask:0xf bank_mask:0xf// 000000002064: 160808FA FF014304
	s_nop 0                                                    // 00000000206C: BF800000
	v_readlane_b32 s20, v4, 63                                 // 000000002070: D2890014 00017F04
	v_mov_b32_e32 v21, s20                                     // 000000002078: 7E2A0214
	v_cmp_eq_f32_e64 s[24:25], v21, v11                        // 00000000207C: D0420018 00021715
	v_cmp_eq_f32_e64 s[26:27], v21, v12                        // 000000002084: D042001A 00021915
	v_cmp_eq_f32_e64 s[28:29], v21, v13                        // 00000000208C: D042001C 00021B15
	v_cmp_eq_f32_e64 s[30:31], v21, v14                        // 000000002094: D042001E 00021D15
	v_cmp_eq_f32_e64 s[32:33], v21, v15                        // 00000000209C: D0420020 00021F15
	v_cmp_eq_f32_e64 s[34:35], v21, v16                        // 0000000020A4: D0420022 00022115
	s_ff1_i32_b64 s36, s[24:25]                                // 0000000020AC: BEA41118
	s_ff1_i32_b64 s37, s[26:27]                                // 0000000020B0: BEA5111A
	s_ff1_i32_b64 s38, s[28:29]                                // 0000000020B4: BEA6111C
	s_ff1_i32_b64 s39, s[30:31]                                // 0000000020B8: BEA7111E
	s_ff1_i32_b64 s40, s[32:33]                                // 0000000020BC: BEA81120
	s_ff1_i32_b64 s41, s[34:35]                                // 0000000020C0: BEA91122
	v_readlane_b32 s20, v21, 0                                 // 0000000020C4: D2890014 00010115
	v_writelane_b32 v18, s20, 1                                // 0000000020CC: D28A0012 00010214
	s_mov_b32 s22, s36                                         // 0000000020D4: BE960024
	s_cmp_eq_u32 s36, -1                                       // 0000000020D8: BF06C124
	s_cselect_b32 s21, 1, 0                                    // 0000000020DC: 85158081
	s_cbranch_scc0 label_0153                                  // 0000000020E0: BF84001A
	s_add_u32 s49, s21, s49                                    // 0000000020E4: 80313115
	s_mov_b32 s22, s37                                         // 0000000020E8: BE960025
	s_cmp_eq_u32 s37, -1                                       // 0000000020EC: BF06C125
	s_cselect_b32 s21, 1, 0                                    // 0000000020F0: 85158081
	s_cbranch_scc0 label_0153                                  // 0000000020F4: BF840015
	s_add_u32 s49, s21, s49                                    // 0000000020F8: 80313115
	s_mov_b32 s22, s38                                         // 0000000020FC: BE960026
	s_cmp_eq_u32 s38, -1                                       // 000000002100: BF06C126
	s_cselect_b32 s21, 1, 0                                    // 000000002104: 85158081
	s_cbranch_scc0 label_0153                                  // 000000002108: BF840010
	s_add_u32 s49, s21, s49                                    // 00000000210C: 80313115
	s_mov_b32 s22, s39                                         // 000000002110: BE960027
	s_cmp_eq_u32 s39, -1                                       // 000000002114: BF06C127
	s_cselect_b32 s21, 1, 0                                    // 000000002118: 85158081
	s_cbranch_scc0 label_0153                                  // 00000000211C: BF84000B
	s_add_u32 s49, s21, s49                                    // 000000002120: 80313115
	s_mov_b32 s22, s40                                         // 000000002124: BE960028
	s_cmp_eq_u32 s40, -1                                       // 000000002128: BF06C128
	s_cselect_b32 s21, 1, 0                                    // 00000000212C: 85158081
	s_cbranch_scc0 label_0153                                  // 000000002130: BF840006
	s_add_u32 s49, s21, s49                                    // 000000002134: 80313115
	s_mov_b32 s22, s41                                         // 000000002138: BE960029
	s_cmp_eq_u32 s41, -1                                       // 00000000213C: BF06C129
	s_cselect_b32 s21, 1, 0                                    // 000000002140: 85158081
	s_cbranch_scc0 label_0153                                  // 000000002144: BF840001
	s_add_u32 s49, s21, s49                                    // 000000002148: 80313115

000000000000214c <label_0153>:
	s_set_gpr_idx_on s49, gpr_idx(DST)                         // 00000000214C: BF110831
	v_writelane_b32 v11, 0, s22                                // 000000002150: D28A000B 00002C80
	s_set_gpr_idx_off                                          // 000000002158: BF9C0000
	s_mul_i32 s49, 64, s49                                     // 00000000215C: 923131C0
	s_add_u32 s49, s22, s49                                    // 000000002160: 80313116
	v_writelane_b32 v17, s49, 1                                // 000000002164: D28A0011 00010231
	v_max_f32_e32 v21, v11, v12                                // 00000000216C: 162A190B
	v_max3_f32 v21, v21, v13, v14                              // 000000002170: D1D30015 043A1B15
	v_max3_f32 v21, v21, v15, v16                              // 000000002178: D1D30015 04421F15
	s_nop 1                                                    // 000000002180: BF800001
	v_max_f32_dpp v4, v21, v21 quad_perm:[1,0,3,2] row_mask:0xf bank_mask:0xf// 000000002184: 16082AFA FF00B115
	s_nop 1                                                    // 00000000218C: BF800001
	v_max_f32_dpp v4, v4, v4 quad_perm:[2,3,0,1] row_mask:0xf bank_mask:0xf// 000000002190: 160808FA FF004E04
	s_nop 1                                                    // 000000002198: BF800001
	v_max_f32_dpp v4, v4, v4 row_shr:4 row_mask:0xf bank_mask:0xf// 00000000219C: 160808FA FF011404
	s_nop 1                                                    // 0000000021A4: BF800001
	v_max_f32_dpp v4, v4, v4 row_shr:8 row_mask:0xf bank_mask:0xf// 0000000021A8: 160808FA FF011804
	s_nop 1                                                    // 0000000021B0: BF800001
	v_max_f32_dpp v4, v4, v4 row_bcast:15 row_mask:0xf bank_mask:0xf// 0000000021B4: 160808FA FF014204
	s_nop 1                                                    // 0000000021BC: BF800001
	v_max_f32_dpp v4, v4, v4 row_bcast:31 row_mask:0xf bank_mask:0xf// 0000000021C0: 160808FA FF014304
	s_nop 0                                                    // 0000000021C8: BF800000
	v_readlane_b32 s20, v4, 63                                 // 0000000021CC: D2890014 00017F04
	v_mov_b32_e32 v21, s20                                     // 0000000021D4: 7E2A0214
	v_cmp_eq_f32_e64 s[24:25], v21, v11                        // 0000000021D8: D0420018 00021715
	v_cmp_eq_f32_e64 s[26:27], v21, v12                        // 0000000021E0: D042001A 00021915
	v_cmp_eq_f32_e64 s[28:29], v21, v13                        // 0000000021E8: D042001C 00021B15
	v_cmp_eq_f32_e64 s[30:31], v21, v14                        // 0000000021F0: D042001E 00021D15
	v_cmp_eq_f32_e64 s[32:33], v21, v15                        // 0000000021F8: D0420020 00021F15
	v_cmp_eq_f32_e64 s[34:35], v21, v16                        // 000000002200: D0420022 00022115
	s_ff1_i32_b64 s36, s[24:25]                                // 000000002208: BEA41118
	s_ff1_i32_b64 s37, s[26:27]                                // 00000000220C: BEA5111A
	s_ff1_i32_b64 s38, s[28:29]                                // 000000002210: BEA6111C
	s_ff1_i32_b64 s39, s[30:31]                                // 000000002214: BEA7111E
	s_ff1_i32_b64 s40, s[32:33]                                // 000000002218: BEA81120
	s_ff1_i32_b64 s41, s[34:35]                                // 00000000221C: BEA91122
	v_readlane_b32 s20, v21, 0                                 // 000000002220: D2890014 00010115
	v_writelane_b32 v18, s20, 2                                // 000000002228: D28A0012 00010414
	s_mov_b32 s22, s36                                         // 000000002230: BE960024
	s_cmp_eq_u32 s36, -1                                       // 000000002234: BF06C124
	s_cselect_b32 s21, 1, 0                                    // 000000002238: 85158081
	s_cbranch_scc0 label_01AA                                  // 00000000223C: BF84001A
	s_add_u32 s50, s21, s50                                    // 000000002240: 80323215
	s_mov_b32 s22, s37                                         // 000000002244: BE960025
	s_cmp_eq_u32 s37, -1                                       // 000000002248: BF06C125
	s_cselect_b32 s21, 1, 0                                    // 00000000224C: 85158081
	s_cbranch_scc0 label_01AA                                  // 000000002250: BF840015
	s_add_u32 s50, s21, s50                                    // 000000002254: 80323215
	s_mov_b32 s22, s38                                         // 000000002258: BE960026
	s_cmp_eq_u32 s38, -1                                       // 00000000225C: BF06C126
	s_cselect_b32 s21, 1, 0                                    // 000000002260: 85158081
	s_cbranch_scc0 label_01AA                                  // 000000002264: BF840010
	s_add_u32 s50, s21, s50                                    // 000000002268: 80323215
	s_mov_b32 s22, s39                                         // 00000000226C: BE960027
	s_cmp_eq_u32 s39, -1                                       // 000000002270: BF06C127
	s_cselect_b32 s21, 1, 0                                    // 000000002274: 85158081
	s_cbranch_scc0 label_01AA                                  // 000000002278: BF84000B
	s_add_u32 s50, s21, s50                                    // 00000000227C: 80323215
	s_mov_b32 s22, s40                                         // 000000002280: BE960028
	s_cmp_eq_u32 s40, -1                                       // 000000002284: BF06C128
	s_cselect_b32 s21, 1, 0                                    // 000000002288: 85158081
	s_cbranch_scc0 label_01AA                                  // 00000000228C: BF840006
	s_add_u32 s50, s21, s50                                    // 000000002290: 80323215
	s_mov_b32 s22, s41                                         // 000000002294: BE960029
	s_cmp_eq_u32 s41, -1                                       // 000000002298: BF06C129
	s_cselect_b32 s21, 1, 0                                    // 00000000229C: 85158081
	s_cbranch_scc0 label_01AA                                  // 0000000022A0: BF840001
	s_add_u32 s50, s21, s50                                    // 0000000022A4: 80323215

00000000000022a8 <label_01AA>:
	s_set_gpr_idx_on s50, gpr_idx(DST)                         // 0000000022A8: BF110832
	v_writelane_b32 v11, 0, s22                                // 0000000022AC: D28A000B 00002C80
	s_set_gpr_idx_off                                          // 0000000022B4: BF9C0000
	s_mul_i32 s50, 64, s50                                     // 0000000022B8: 923232C0
	s_add_u32 s50, s22, s50                                    // 0000000022BC: 80323216
	v_writelane_b32 v17, s50, 2                                // 0000000022C0: D28A0011 00010432
	v_max_f32_e32 v21, v11, v12                                // 0000000022C8: 162A190B
	v_max3_f32 v21, v21, v13, v14                              // 0000000022CC: D1D30015 043A1B15
	v_max3_f32 v21, v21, v15, v16                              // 0000000022D4: D1D30015 04421F15
	s_nop 1                                                    // 0000000022DC: BF800001
	v_max_f32_dpp v4, v21, v21 quad_perm:[1,0,3,2] row_mask:0xf bank_mask:0xf// 0000000022E0: 16082AFA FF00B115
	s_nop 1                                                    // 0000000022E8: BF800001
	v_max_f32_dpp v4, v4, v4 quad_perm:[2,3,0,1] row_mask:0xf bank_mask:0xf// 0000000022EC: 160808FA FF004E04
	s_nop 1                                                    // 0000000022F4: BF800001
	v_max_f32_dpp v4, v4, v4 row_shr:4 row_mask:0xf bank_mask:0xf// 0000000022F8: 160808FA FF011404
	s_nop 1                                                    // 000000002300: BF800001
	v_max_f32_dpp v4, v4, v4 row_shr:8 row_mask:0xf bank_mask:0xf// 000000002304: 160808FA FF011804
	s_nop 1                                                    // 00000000230C: BF800001
	v_max_f32_dpp v4, v4, v4 row_bcast:15 row_mask:0xf bank_mask:0xf// 000000002310: 160808FA FF014204
	s_nop 1                                                    // 000000002318: BF800001
	v_max_f32_dpp v4, v4, v4 row_bcast:31 row_mask:0xf bank_mask:0xf// 00000000231C: 160808FA FF014304
	s_nop 0                                                    // 000000002324: BF800000
	v_readlane_b32 s20, v4, 63                                 // 000000002328: D2890014 00017F04
	v_mov_b32_e32 v21, s20                                     // 000000002330: 7E2A0214
	v_cmp_eq_f32_e64 s[24:25], v21, v11                        // 000000002334: D0420018 00021715
	v_cmp_eq_f32_e64 s[26:27], v21, v12                        // 00000000233C: D042001A 00021915
	v_cmp_eq_f32_e64 s[28:29], v21, v13                        // 000000002344: D042001C 00021B15
	v_cmp_eq_f32_e64 s[30:31], v21, v14                        // 00000000234C: D042001E 00021D15
	v_cmp_eq_f32_e64 s[32:33], v21, v15                        // 000000002354: D0420020 00021F15
	v_cmp_eq_f32_e64 s[34:35], v21, v16                        // 00000000235C: D0420022 00022115
	s_ff1_i32_b64 s36, s[24:25]                                // 000000002364: BEA41118
	s_ff1_i32_b64 s37, s[26:27]                                // 000000002368: BEA5111A
	s_ff1_i32_b64 s38, s[28:29]                                // 00000000236C: BEA6111C
	s_ff1_i32_b64 s39, s[30:31]                                // 000000002370: BEA7111E
	s_ff1_i32_b64 s40, s[32:33]                                // 000000002374: BEA81120
	s_ff1_i32_b64 s41, s[34:35]                                // 000000002378: BEA91122
	v_readlane_b32 s20, v21, 0                                 // 00000000237C: D2890014 00010115
	v_writelane_b32 v18, s20, 3                                // 000000002384: D28A0012 00010614
	s_mov_b32 s22, s36                                         // 00000000238C: BE960024
	s_cmp_eq_u32 s36, -1                                       // 000000002390: BF06C124
	s_cselect_b32 s21, 1, 0                                    // 000000002394: 85158081
	s_cbranch_scc0 label_0201                                  // 000000002398: BF84001A
	s_add_u32 s51, s21, s51                                    // 00000000239C: 80333315
	s_mov_b32 s22, s37                                         // 0000000023A0: BE960025
	s_cmp_eq_u32 s37, -1                                       // 0000000023A4: BF06C125
	s_cselect_b32 s21, 1, 0                                    // 0000000023A8: 85158081
	s_cbranch_scc0 label_0201                                  // 0000000023AC: BF840015
	s_add_u32 s51, s21, s51                                    // 0000000023B0: 80333315
	s_mov_b32 s22, s38                                         // 0000000023B4: BE960026
	s_cmp_eq_u32 s38, -1                                       // 0000000023B8: BF06C126
	s_cselect_b32 s21, 1, 0                                    // 0000000023BC: 85158081
	s_cbranch_scc0 label_0201                                  // 0000000023C0: BF840010
	s_add_u32 s51, s21, s51                                    // 0000000023C4: 80333315
	s_mov_b32 s22, s39                                         // 0000000023C8: BE960027
	s_cmp_eq_u32 s39, -1                                       // 0000000023CC: BF06C127
	s_cselect_b32 s21, 1, 0                                    // 0000000023D0: 85158081
	s_cbranch_scc0 label_0201                                  // 0000000023D4: BF84000B
	s_add_u32 s51, s21, s51                                    // 0000000023D8: 80333315
	s_mov_b32 s22, s40                                         // 0000000023DC: BE960028
	s_cmp_eq_u32 s40, -1                                       // 0000000023E0: BF06C128
	s_cselect_b32 s21, 1, 0                                    // 0000000023E4: 85158081
	s_cbranch_scc0 label_0201                                  // 0000000023E8: BF840006
	s_add_u32 s51, s21, s51                                    // 0000000023EC: 80333315
	s_mov_b32 s22, s41                                         // 0000000023F0: BE960029
	s_cmp_eq_u32 s41, -1                                       // 0000000023F4: BF06C129
	s_cselect_b32 s21, 1, 0                                    // 0000000023F8: 85158081
	s_cbranch_scc0 label_0201                                  // 0000000023FC: BF840001
	s_add_u32 s51, s21, s51                                    // 000000002400: 80333315

0000000000002404 <label_0201>:
	s_set_gpr_idx_on s51, gpr_idx(DST)                         // 000000002404: BF110833
	v_writelane_b32 v11, 0, s22                                // 000000002408: D28A000B 00002C80
	s_set_gpr_idx_off                                          // 000000002410: BF9C0000
	s_mul_i32 s51, 64, s51                                     // 000000002414: 923333C0
	s_add_u32 s51, s22, s51                                    // 000000002418: 80333316
	v_writelane_b32 v17, s51, 3                                // 00000000241C: D28A0011 00010633
	v_max_f32_e32 v21, v11, v12                                // 000000002424: 162A190B
	v_max3_f32 v21, v21, v13, v14                              // 000000002428: D1D30015 043A1B15
	v_max3_f32 v21, v21, v15, v16                              // 000000002430: D1D30015 04421F15
	s_nop 1                                                    // 000000002438: BF800001
	v_max_f32_dpp v4, v21, v21 quad_perm:[1,0,3,2] row_mask:0xf bank_mask:0xf// 00000000243C: 16082AFA FF00B115
	s_nop 1                                                    // 000000002444: BF800001
	v_max_f32_dpp v4, v4, v4 quad_perm:[2,3,0,1] row_mask:0xf bank_mask:0xf// 000000002448: 160808FA FF004E04
	s_nop 1                                                    // 000000002450: BF800001
	v_max_f32_dpp v4, v4, v4 row_shr:4 row_mask:0xf bank_mask:0xf// 000000002454: 160808FA FF011404
	s_nop 1                                                    // 00000000245C: BF800001
	v_max_f32_dpp v4, v4, v4 row_shr:8 row_mask:0xf bank_mask:0xf// 000000002460: 160808FA FF011804
	s_nop 1                                                    // 000000002468: BF800001
	v_max_f32_dpp v4, v4, v4 row_bcast:15 row_mask:0xf bank_mask:0xf// 00000000246C: 160808FA FF014204
	s_nop 1                                                    // 000000002474: BF800001
	v_max_f32_dpp v4, v4, v4 row_bcast:31 row_mask:0xf bank_mask:0xf// 000000002478: 160808FA FF014304
	s_nop 0                                                    // 000000002480: BF800000
	v_readlane_b32 s20, v4, 63                                 // 000000002484: D2890014 00017F04
	v_mov_b32_e32 v21, s20                                     // 00000000248C: 7E2A0214
	v_cmp_eq_f32_e64 s[24:25], v21, v11                        // 000000002490: D0420018 00021715
	v_cmp_eq_f32_e64 s[26:27], v21, v12                        // 000000002498: D042001A 00021915
	v_cmp_eq_f32_e64 s[28:29], v21, v13                        // 0000000024A0: D042001C 00021B15
	v_cmp_eq_f32_e64 s[30:31], v21, v14                        // 0000000024A8: D042001E 00021D15
	v_cmp_eq_f32_e64 s[32:33], v21, v15                        // 0000000024B0: D0420020 00021F15
	v_cmp_eq_f32_e64 s[34:35], v21, v16                        // 0000000024B8: D0420022 00022115
	s_ff1_i32_b64 s36, s[24:25]                                // 0000000024C0: BEA41118
	s_ff1_i32_b64 s37, s[26:27]                                // 0000000024C4: BEA5111A
	s_ff1_i32_b64 s38, s[28:29]                                // 0000000024C8: BEA6111C
	s_ff1_i32_b64 s39, s[30:31]                                // 0000000024CC: BEA7111E
	s_ff1_i32_b64 s40, s[32:33]                                // 0000000024D0: BEA81120
	s_ff1_i32_b64 s41, s[34:35]                                // 0000000024D4: BEA91122
	v_readlane_b32 s20, v21, 0                                 // 0000000024D8: D2890014 00010115
	v_writelane_b32 v18, s20, 4                                // 0000000024E0: D28A0012 00010814
	s_mov_b32 s22, s36                                         // 0000000024E8: BE960024
	s_cmp_eq_u32 s36, -1                                       // 0000000024EC: BF06C124
	s_cselect_b32 s21, 1, 0                                    // 0000000024F0: 85158081
	s_cbranch_scc0 label_0258                                  // 0000000024F4: BF84001A
	s_add_u32 s52, s21, s52                                    // 0000000024F8: 80343415
	s_mov_b32 s22, s37                                         // 0000000024FC: BE960025
	s_cmp_eq_u32 s37, -1                                       // 000000002500: BF06C125
	s_cselect_b32 s21, 1, 0                                    // 000000002504: 85158081
	s_cbranch_scc0 label_0258                                  // 000000002508: BF840015
	s_add_u32 s52, s21, s52                                    // 00000000250C: 80343415
	s_mov_b32 s22, s38                                         // 000000002510: BE960026
	s_cmp_eq_u32 s38, -1                                       // 000000002514: BF06C126
	s_cselect_b32 s21, 1, 0                                    // 000000002518: 85158081
	s_cbranch_scc0 label_0258                                  // 00000000251C: BF840010
	s_add_u32 s52, s21, s52                                    // 000000002520: 80343415
	s_mov_b32 s22, s39                                         // 000000002524: BE960027
	s_cmp_eq_u32 s39, -1                                       // 000000002528: BF06C127
	s_cselect_b32 s21, 1, 0                                    // 00000000252C: 85158081
	s_cbranch_scc0 label_0258                                  // 000000002530: BF84000B
	s_add_u32 s52, s21, s52                                    // 000000002534: 80343415
	s_mov_b32 s22, s40                                         // 000000002538: BE960028
	s_cmp_eq_u32 s40, -1                                       // 00000000253C: BF06C128
	s_cselect_b32 s21, 1, 0                                    // 000000002540: 85158081
	s_cbranch_scc0 label_0258                                  // 000000002544: BF840006
	s_add_u32 s52, s21, s52                                    // 000000002548: 80343415
	s_mov_b32 s22, s41                                         // 00000000254C: BE960029
	s_cmp_eq_u32 s41, -1                                       // 000000002550: BF06C129
	s_cselect_b32 s21, 1, 0                                    // 000000002554: 85158081
	s_cbranch_scc0 label_0258                                  // 000000002558: BF840001
	s_add_u32 s52, s21, s52                                    // 00000000255C: 80343415

0000000000002560 <label_0258>:
	s_set_gpr_idx_on s52, gpr_idx(DST)                         // 000000002560: BF110834
	v_writelane_b32 v11, 0, s22                                // 000000002564: D28A000B 00002C80
	s_set_gpr_idx_off                                          // 00000000256C: BF9C0000
	s_mul_i32 s52, 64, s52                                     // 000000002570: 923434C0
	s_add_u32 s52, s22, s52                                    // 000000002574: 80343416
	v_writelane_b32 v17, s52, 4                                // 000000002578: D28A0011 00010834
	v_max_f32_e32 v21, v11, v12                                // 000000002580: 162A190B
	v_max3_f32 v21, v21, v13, v14                              // 000000002584: D1D30015 043A1B15
	v_max3_f32 v21, v21, v15, v16                              // 00000000258C: D1D30015 04421F15
	s_nop 1                                                    // 000000002594: BF800001
	v_max_f32_dpp v4, v21, v21 quad_perm:[1,0,3,2] row_mask:0xf bank_mask:0xf// 000000002598: 16082AFA FF00B115
	s_nop 1                                                    // 0000000025A0: BF800001
	v_max_f32_dpp v4, v4, v4 quad_perm:[2,3,0,1] row_mask:0xf bank_mask:0xf// 0000000025A4: 160808FA FF004E04
	s_nop 1                                                    // 0000000025AC: BF800001
	v_max_f32_dpp v4, v4, v4 row_shr:4 row_mask:0xf bank_mask:0xf// 0000000025B0: 160808FA FF011404
	s_nop 1                                                    // 0000000025B8: BF800001
	v_max_f32_dpp v4, v4, v4 row_shr:8 row_mask:0xf bank_mask:0xf// 0000000025BC: 160808FA FF011804
	s_nop 1                                                    // 0000000025C4: BF800001
	v_max_f32_dpp v4, v4, v4 row_bcast:15 row_mask:0xf bank_mask:0xf// 0000000025C8: 160808FA FF014204
	s_nop 1                                                    // 0000000025D0: BF800001
	v_max_f32_dpp v4, v4, v4 row_bcast:31 row_mask:0xf bank_mask:0xf// 0000000025D4: 160808FA FF014304
	s_nop 0                                                    // 0000000025DC: BF800000
	v_readlane_b32 s20, v4, 63                                 // 0000000025E0: D2890014 00017F04
	v_mov_b32_e32 v21, s20                                     // 0000000025E8: 7E2A0214
	v_cmp_eq_f32_e64 s[24:25], v21, v11                        // 0000000025EC: D0420018 00021715
	v_cmp_eq_f32_e64 s[26:27], v21, v12                        // 0000000025F4: D042001A 00021915
	v_cmp_eq_f32_e64 s[28:29], v21, v13                        // 0000000025FC: D042001C 00021B15
	v_cmp_eq_f32_e64 s[30:31], v21, v14                        // 000000002604: D042001E 00021D15
	v_cmp_eq_f32_e64 s[32:33], v21, v15                        // 00000000260C: D0420020 00021F15
	v_cmp_eq_f32_e64 s[34:35], v21, v16                        // 000000002614: D0420022 00022115
	s_ff1_i32_b64 s36, s[24:25]                                // 00000000261C: BEA41118
	s_ff1_i32_b64 s37, s[26:27]                                // 000000002620: BEA5111A
	s_ff1_i32_b64 s38, s[28:29]                                // 000000002624: BEA6111C
	s_ff1_i32_b64 s39, s[30:31]                                // 000000002628: BEA7111E
	s_ff1_i32_b64 s40, s[32:33]                                // 00000000262C: BEA81120
	s_ff1_i32_b64 s41, s[34:35]                                // 000000002630: BEA91122
	v_readlane_b32 s20, v21, 0                                 // 000000002634: D2890014 00010115
	v_writelane_b32 v18, s20, 5                                // 00000000263C: D28A0012 00010A14
	s_mov_b32 s22, s36                                         // 000000002644: BE960024
	s_cmp_eq_u32 s36, -1                                       // 000000002648: BF06C124
	s_cselect_b32 s21, 1, 0                                    // 00000000264C: 85158081
	s_cbranch_scc0 label_02AF                                  // 000000002650: BF84001A
	s_add_u32 s53, s21, s53                                    // 000000002654: 80353515
	s_mov_b32 s22, s37                                         // 000000002658: BE960025
	s_cmp_eq_u32 s37, -1                                       // 00000000265C: BF06C125
	s_cselect_b32 s21, 1, 0                                    // 000000002660: 85158081
	s_cbranch_scc0 label_02AF                                  // 000000002664: BF840015
	s_add_u32 s53, s21, s53                                    // 000000002668: 80353515
	s_mov_b32 s22, s38                                         // 00000000266C: BE960026
	s_cmp_eq_u32 s38, -1                                       // 000000002670: BF06C126
	s_cselect_b32 s21, 1, 0                                    // 000000002674: 85158081
	s_cbranch_scc0 label_02AF                                  // 000000002678: BF840010
	s_add_u32 s53, s21, s53                                    // 00000000267C: 80353515
	s_mov_b32 s22, s39                                         // 000000002680: BE960027
	s_cmp_eq_u32 s39, -1                                       // 000000002684: BF06C127
	s_cselect_b32 s21, 1, 0                                    // 000000002688: 85158081
	s_cbranch_scc0 label_02AF                                  // 00000000268C: BF84000B
	s_add_u32 s53, s21, s53                                    // 000000002690: 80353515
	s_mov_b32 s22, s40                                         // 000000002694: BE960028
	s_cmp_eq_u32 s40, -1                                       // 000000002698: BF06C128
	s_cselect_b32 s21, 1, 0                                    // 00000000269C: 85158081
	s_cbranch_scc0 label_02AF                                  // 0000000026A0: BF840006
	s_add_u32 s53, s21, s53                                    // 0000000026A4: 80353515
	s_mov_b32 s22, s41                                         // 0000000026A8: BE960029
	s_cmp_eq_u32 s41, -1                                       // 0000000026AC: BF06C129
	s_cselect_b32 s21, 1, 0                                    // 0000000026B0: 85158081
	s_cbranch_scc0 label_02AF                                  // 0000000026B4: BF840001
	s_add_u32 s53, s21, s53                                    // 0000000026B8: 80353515

00000000000026bc <label_02AF>:
	s_set_gpr_idx_on s53, gpr_idx(DST)                         // 0000000026BC: BF110835
	v_writelane_b32 v11, 0, s22                                // 0000000026C0: D28A000B 00002C80
	s_set_gpr_idx_off                                          // 0000000026C8: BF9C0000
	s_mul_i32 s53, 64, s53                                     // 0000000026CC: 923535C0
	s_add_u32 s53, s22, s53                                    // 0000000026D0: 80353516
	v_writelane_b32 v17, s53, 5                                // 0000000026D4: D28A0011 00010A35
	v_max_f32_e32 v21, v11, v12                                // 0000000026DC: 162A190B
	v_max3_f32 v21, v21, v13, v14                              // 0000000026E0: D1D30015 043A1B15
	v_max3_f32 v21, v21, v15, v16                              // 0000000026E8: D1D30015 04421F15
	s_nop 1                                                    // 0000000026F0: BF800001
	v_max_f32_dpp v4, v21, v21 quad_perm:[1,0,3,2] row_mask:0xf bank_mask:0xf// 0000000026F4: 16082AFA FF00B115
	s_nop 1                                                    // 0000000026FC: BF800001
	v_max_f32_dpp v4, v4, v4 quad_perm:[2,3,0,1] row_mask:0xf bank_mask:0xf// 000000002700: 160808FA FF004E04
	s_nop 1                                                    // 000000002708: BF800001
	v_max_f32_dpp v4, v4, v4 row_shr:4 row_mask:0xf bank_mask:0xf// 00000000270C: 160808FA FF011404
	s_nop 1                                                    // 000000002714: BF800001
	v_max_f32_dpp v4, v4, v4 row_shr:8 row_mask:0xf bank_mask:0xf// 000000002718: 160808FA FF011804
	s_nop 1                                                    // 000000002720: BF800001
	v_max_f32_dpp v4, v4, v4 row_bcast:15 row_mask:0xf bank_mask:0xf// 000000002724: 160808FA FF014204
	s_nop 1                                                    // 00000000272C: BF800001
	v_max_f32_dpp v4, v4, v4 row_bcast:31 row_mask:0xf bank_mask:0xf// 000000002730: 160808FA FF014304
	s_nop 0                                                    // 000000002738: BF800000
	v_readlane_b32 s20, v4, 63                                 // 00000000273C: D2890014 00017F04
	v_mov_b32_e32 v21, s20                                     // 000000002744: 7E2A0214
	v_cmp_eq_f32_e64 s[24:25], v21, v11                        // 000000002748: D0420018 00021715
	v_cmp_eq_f32_e64 s[26:27], v21, v12                        // 000000002750: D042001A 00021915
	v_cmp_eq_f32_e64 s[28:29], v21, v13                        // 000000002758: D042001C 00021B15
	v_cmp_eq_f32_e64 s[30:31], v21, v14                        // 000000002760: D042001E 00021D15
	v_cmp_eq_f32_e64 s[32:33], v21, v15                        // 000000002768: D0420020 00021F15
	v_cmp_eq_f32_e64 s[34:35], v21, v16                        // 000000002770: D0420022 00022115
	s_ff1_i32_b64 s36, s[24:25]                                // 000000002778: BEA41118
	s_ff1_i32_b64 s37, s[26:27]                                // 00000000277C: BEA5111A
	s_ff1_i32_b64 s38, s[28:29]                                // 000000002780: BEA6111C
	s_ff1_i32_b64 s39, s[30:31]                                // 000000002784: BEA7111E
	s_ff1_i32_b64 s40, s[32:33]                                // 000000002788: BEA81120
	s_ff1_i32_b64 s41, s[34:35]                                // 00000000278C: BEA91122
	v_readlane_b32 s20, v21, 0                                 // 000000002790: D2890014 00010115
	v_writelane_b32 v18, s20, 6                                // 000000002798: D28A0012 00010C14
	s_mov_b32 s22, s36                                         // 0000000027A0: BE960024
	s_cmp_eq_u32 s36, -1                                       // 0000000027A4: BF06C124
	s_cselect_b32 s21, 1, 0                                    // 0000000027A8: 85158081
	s_cbranch_scc0 label_0306                                  // 0000000027AC: BF84001A
	s_add_u32 s54, s21, s54                                    // 0000000027B0: 80363615
	s_mov_b32 s22, s37                                         // 0000000027B4: BE960025
	s_cmp_eq_u32 s37, -1                                       // 0000000027B8: BF06C125
	s_cselect_b32 s21, 1, 0                                    // 0000000027BC: 85158081
	s_cbranch_scc0 label_0306                                  // 0000000027C0: BF840015
	s_add_u32 s54, s21, s54                                    // 0000000027C4: 80363615
	s_mov_b32 s22, s38                                         // 0000000027C8: BE960026
	s_cmp_eq_u32 s38, -1                                       // 0000000027CC: BF06C126
	s_cselect_b32 s21, 1, 0                                    // 0000000027D0: 85158081
	s_cbranch_scc0 label_0306                                  // 0000000027D4: BF840010
	s_add_u32 s54, s21, s54                                    // 0000000027D8: 80363615
	s_mov_b32 s22, s39                                         // 0000000027DC: BE960027
	s_cmp_eq_u32 s39, -1                                       // 0000000027E0: BF06C127
	s_cselect_b32 s21, 1, 0                                    // 0000000027E4: 85158081
	s_cbranch_scc0 label_0306                                  // 0000000027E8: BF84000B
	s_add_u32 s54, s21, s54                                    // 0000000027EC: 80363615
	s_mov_b32 s22, s40                                         // 0000000027F0: BE960028
	s_cmp_eq_u32 s40, -1                                       // 0000000027F4: BF06C128
	s_cselect_b32 s21, 1, 0                                    // 0000000027F8: 85158081
	s_cbranch_scc0 label_0306                                  // 0000000027FC: BF840006
	s_add_u32 s54, s21, s54                                    // 000000002800: 80363615
	s_mov_b32 s22, s41                                         // 000000002804: BE960029
	s_cmp_eq_u32 s41, -1                                       // 000000002808: BF06C129
	s_cselect_b32 s21, 1, 0                                    // 00000000280C: 85158081
	s_cbranch_scc0 label_0306                                  // 000000002810: BF840001
	s_add_u32 s54, s21, s54                                    // 000000002814: 80363615

0000000000002818 <label_0306>:
	s_set_gpr_idx_on s54, gpr_idx(DST)                         // 000000002818: BF110836
	v_writelane_b32 v11, 0, s22                                // 00000000281C: D28A000B 00002C80
	s_set_gpr_idx_off                                          // 000000002824: BF9C0000
	s_mul_i32 s54, 64, s54                                     // 000000002828: 923636C0
	s_add_u32 s54, s22, s54                                    // 00000000282C: 80363616
	v_writelane_b32 v17, s54, 6                                // 000000002830: D28A0011 00010C36
	v_max_f32_e32 v21, v11, v12                                // 000000002838: 162A190B
	v_max3_f32 v21, v21, v13, v14                              // 00000000283C: D1D30015 043A1B15
	v_max3_f32 v21, v21, v15, v16                              // 000000002844: D1D30015 04421F15
	s_nop 1                                                    // 00000000284C: BF800001
	v_max_f32_dpp v4, v21, v21 quad_perm:[1,0,3,2] row_mask:0xf bank_mask:0xf// 000000002850: 16082AFA FF00B115
	s_nop 1                                                    // 000000002858: BF800001
	v_max_f32_dpp v4, v4, v4 quad_perm:[2,3,0,1] row_mask:0xf bank_mask:0xf// 00000000285C: 160808FA FF004E04
	s_nop 1                                                    // 000000002864: BF800001
	v_max_f32_dpp v4, v4, v4 row_shr:4 row_mask:0xf bank_mask:0xf// 000000002868: 160808FA FF011404
	s_nop 1                                                    // 000000002870: BF800001
	v_max_f32_dpp v4, v4, v4 row_shr:8 row_mask:0xf bank_mask:0xf// 000000002874: 160808FA FF011804
	s_nop 1                                                    // 00000000287C: BF800001
	v_max_f32_dpp v4, v4, v4 row_bcast:15 row_mask:0xf bank_mask:0xf// 000000002880: 160808FA FF014204
	s_nop 1                                                    // 000000002888: BF800001
	v_max_f32_dpp v4, v4, v4 row_bcast:31 row_mask:0xf bank_mask:0xf// 00000000288C: 160808FA FF014304
	s_nop 0                                                    // 000000002894: BF800000
	v_readlane_b32 s20, v4, 63                                 // 000000002898: D2890014 00017F04
	v_mov_b32_e32 v21, s20                                     // 0000000028A0: 7E2A0214
	v_cmp_eq_f32_e64 s[24:25], v21, v11                        // 0000000028A4: D0420018 00021715
	v_cmp_eq_f32_e64 s[26:27], v21, v12                        // 0000000028AC: D042001A 00021915
	v_cmp_eq_f32_e64 s[28:29], v21, v13                        // 0000000028B4: D042001C 00021B15
	v_cmp_eq_f32_e64 s[30:31], v21, v14                        // 0000000028BC: D042001E 00021D15
	v_cmp_eq_f32_e64 s[32:33], v21, v15                        // 0000000028C4: D0420020 00021F15
	v_cmp_eq_f32_e64 s[34:35], v21, v16                        // 0000000028CC: D0420022 00022115
	s_ff1_i32_b64 s36, s[24:25]                                // 0000000028D4: BEA41118
	s_ff1_i32_b64 s37, s[26:27]                                // 0000000028D8: BEA5111A
	s_ff1_i32_b64 s38, s[28:29]                                // 0000000028DC: BEA6111C
	s_ff1_i32_b64 s39, s[30:31]                                // 0000000028E0: BEA7111E
	s_ff1_i32_b64 s40, s[32:33]                                // 0000000028E4: BEA81120
	s_ff1_i32_b64 s41, s[34:35]                                // 0000000028E8: BEA91122
	v_readlane_b32 s20, v21, 0                                 // 0000000028EC: D2890014 00010115
	v_writelane_b32 v18, s20, 7                                // 0000000028F4: D28A0012 00010E14
	s_mov_b32 s22, s36                                         // 0000000028FC: BE960024
	s_cmp_eq_u32 s36, -1                                       // 000000002900: BF06C124
	s_cselect_b32 s21, 1, 0                                    // 000000002904: 85158081
	s_cbranch_scc0 label_035D                                  // 000000002908: BF84001A
	s_add_u32 s55, s21, s55                                    // 00000000290C: 80373715
	s_mov_b32 s22, s37                                         // 000000002910: BE960025
	s_cmp_eq_u32 s37, -1                                       // 000000002914: BF06C125
	s_cselect_b32 s21, 1, 0                                    // 000000002918: 85158081
	s_cbranch_scc0 label_035D                                  // 00000000291C: BF840015
	s_add_u32 s55, s21, s55                                    // 000000002920: 80373715
	s_mov_b32 s22, s38                                         // 000000002924: BE960026
	s_cmp_eq_u32 s38, -1                                       // 000000002928: BF06C126
	s_cselect_b32 s21, 1, 0                                    // 00000000292C: 85158081
	s_cbranch_scc0 label_035D                                  // 000000002930: BF840010
	s_add_u32 s55, s21, s55                                    // 000000002934: 80373715
	s_mov_b32 s22, s39                                         // 000000002938: BE960027
	s_cmp_eq_u32 s39, -1                                       // 00000000293C: BF06C127
	s_cselect_b32 s21, 1, 0                                    // 000000002940: 85158081
	s_cbranch_scc0 label_035D                                  // 000000002944: BF84000B
	s_add_u32 s55, s21, s55                                    // 000000002948: 80373715
	s_mov_b32 s22, s40                                         // 00000000294C: BE960028
	s_cmp_eq_u32 s40, -1                                       // 000000002950: BF06C128
	s_cselect_b32 s21, 1, 0                                    // 000000002954: 85158081
	s_cbranch_scc0 label_035D                                  // 000000002958: BF840006
	s_add_u32 s55, s21, s55                                    // 00000000295C: 80373715
	s_mov_b32 s22, s41                                         // 000000002960: BE960029
	s_cmp_eq_u32 s41, -1                                       // 000000002964: BF06C129
	s_cselect_b32 s21, 1, 0                                    // 000000002968: 85158081
	s_cbranch_scc0 label_035D                                  // 00000000296C: BF840001
	s_add_u32 s55, s21, s55                                    // 000000002970: 80373715

0000000000002974 <label_035D>:
	s_set_gpr_idx_on s55, gpr_idx(DST)                         // 000000002974: BF110837
	v_writelane_b32 v11, 0, s22                                // 000000002978: D28A000B 00002C80
	s_set_gpr_idx_off                                          // 000000002980: BF9C0000
	s_mul_i32 s55, 64, s55                                     // 000000002984: 923737C0
	s_add_u32 s55, s22, s55                                    // 000000002988: 80373716
	v_writelane_b32 v17, s55, 7                                // 00000000298C: D28A0011 00010E37
	s_bfm_b64 exec, s18, 0                                     // 000000002994: 91FE8012
	buffer_store_dword v17, v9, s[4:7], 0 offen                // 000000002998: E0701000 80011109
	buffer_store_dword v18, v10, s[8:11], 0 offen              // 0000000029A0: E0701000 8002120A
	s_branch label_0633                                        // 0000000029A8: BF8202C8

00000000000029ac <label_036B>:
	v_max_f32_e32 v21, v11, v12                                // 0000000029AC: 162A190B
	v_max3_f32 v21, v21, v13, v14                              // 0000000029B0: D1D30015 043A1B15
	v_max3_f32 v21, v21, v15, v16                              // 0000000029B8: D1D30015 04421F15
	s_nop 1                                                    // 0000000029C0: BF800001
	v_max_f32_dpp v4, v21, v21 quad_perm:[1,0,3,2] row_mask:0xf bank_mask:0xf// 0000000029C4: 16082AFA FF00B115
	s_nop 1                                                    // 0000000029CC: BF800001
	v_max_f32_dpp v4, v4, v4 quad_perm:[2,3,0,1] row_mask:0xf bank_mask:0xf// 0000000029D0: 160808FA FF004E04
	s_nop 1                                                    // 0000000029D8: BF800001
	v_max_f32_dpp v4, v4, v4 row_shr:4 row_mask:0xf bank_mask:0xf// 0000000029DC: 160808FA FF011404
	s_nop 1                                                    // 0000000029E4: BF800001
	v_max_f32_dpp v4, v4, v4 row_shr:8 row_mask:0xf bank_mask:0xf// 0000000029E8: 160808FA FF011804
	s_nop 1                                                    // 0000000029F0: BF800001
	v_max_f32_dpp v4, v4, v4 row_bcast:15 row_mask:0xf bank_mask:0xf// 0000000029F4: 160808FA FF014204
	s_nop 1                                                    // 0000000029FC: BF800001
	v_max_f32_dpp v4, v4, v4 row_bcast:31 row_mask:0xf bank_mask:0xf// 000000002A00: 160808FA FF014304
	s_nop 0                                                    // 000000002A08: BF800000
	v_readlane_b32 s20, v4, 63                                 // 000000002A0C: D2890014 00017F04
	v_mov_b32_e32 v21, s20                                     // 000000002A14: 7E2A0214
	v_add_f32_e32 v23, v23, v21                                // 000000002A18: 022E2B17
	v_cmp_eq_f32_e64 s[24:25], v21, v11                        // 000000002A1C: D0420018 00021715
	v_cmp_eq_f32_e64 s[26:27], v21, v12                        // 000000002A24: D042001A 00021915
	v_cmp_eq_f32_e64 s[28:29], v21, v13                        // 000000002A2C: D042001C 00021B15
	v_cmp_eq_f32_e64 s[30:31], v21, v14                        // 000000002A34: D042001E 00021D15
	v_cmp_eq_f32_e64 s[32:33], v21, v15                        // 000000002A3C: D0420020 00021F15
	v_cmp_eq_f32_e64 s[34:35], v21, v16                        // 000000002A44: D0420022 00022115
	s_ff1_i32_b64 s36, s[24:25]                                // 000000002A4C: BEA41118
	s_ff1_i32_b64 s37, s[26:27]                                // 000000002A50: BEA5111A
	s_ff1_i32_b64 s38, s[28:29]                                // 000000002A54: BEA6111C
	s_ff1_i32_b64 s39, s[30:31]                                // 000000002A58: BEA7111E
	s_ff1_i32_b64 s40, s[32:33]                                // 000000002A5C: BEA81120
	s_ff1_i32_b64 s41, s[34:35]                                // 000000002A60: BEA91122
	v_readlane_b32 s20, v21, 0                                 // 000000002A64: D2890014 00010115
	v_writelane_b32 v18, s20, 0                                // 000000002A6C: D28A0012 00010014
	s_mov_b32 s22, s36                                         // 000000002A74: BE960024
	s_cmp_eq_u32 s36, -1                                       // 000000002A78: BF06C124
	s_cselect_b32 s21, 1, 0                                    // 000000002A7C: 85158081
	s_cbranch_scc0 label_03BB                                  // 000000002A80: BF84001A
	s_add_u32 s48, s21, s48                                    // 000000002A84: 80303015
	s_mov_b32 s22, s37                                         // 000000002A88: BE960025
	s_cmp_eq_u32 s37, -1                                       // 000000002A8C: BF06C125
	s_cselect_b32 s21, 1, 0                                    // 000000002A90: 85158081
	s_cbranch_scc0 label_03BB                                  // 000000002A94: BF840015
	s_add_u32 s48, s21, s48                                    // 000000002A98: 80303015
	s_mov_b32 s22, s38                                         // 000000002A9C: BE960026
	s_cmp_eq_u32 s38, -1                                       // 000000002AA0: BF06C126
	s_cselect_b32 s21, 1, 0                                    // 000000002AA4: 85158081
	s_cbranch_scc0 label_03BB                                  // 000000002AA8: BF840010
	s_add_u32 s48, s21, s48                                    // 000000002AAC: 80303015
	s_mov_b32 s22, s39                                         // 000000002AB0: BE960027
	s_cmp_eq_u32 s39, -1                                       // 000000002AB4: BF06C127
	s_cselect_b32 s21, 1, 0                                    // 000000002AB8: 85158081
	s_cbranch_scc0 label_03BB                                  // 000000002ABC: BF84000B
	s_add_u32 s48, s21, s48                                    // 000000002AC0: 80303015
	s_mov_b32 s22, s40                                         // 000000002AC4: BE960028
	s_cmp_eq_u32 s40, -1                                       // 000000002AC8: BF06C128
	s_cselect_b32 s21, 1, 0                                    // 000000002ACC: 85158081
	s_cbranch_scc0 label_03BB                                  // 000000002AD0: BF840006
	s_add_u32 s48, s21, s48                                    // 000000002AD4: 80303015
	s_mov_b32 s22, s41                                         // 000000002AD8: BE960029
	s_cmp_eq_u32 s41, -1                                       // 000000002ADC: BF06C129
	s_cselect_b32 s21, 1, 0                                    // 000000002AE0: 85158081
	s_cbranch_scc0 label_03BB                                  // 000000002AE4: BF840001
	s_add_u32 s48, s21, s48                                    // 000000002AE8: 80303015

0000000000002aec <label_03BB>:
	s_set_gpr_idx_on s48, gpr_idx(DST)                         // 000000002AEC: BF110830
	v_writelane_b32 v11, 0, s22                                // 000000002AF0: D28A000B 00002C80
	s_set_gpr_idx_off                                          // 000000002AF8: BF9C0000
	s_mul_i32 s48, 64, s48                                     // 000000002AFC: 923030C0
	s_add_u32 s48, s22, s48                                    // 000000002B00: 80303016
	v_writelane_b32 v17, s48, 0                                // 000000002B04: D28A0011 00010030
	v_max_f32_e32 v21, v11, v12                                // 000000002B0C: 162A190B
	v_max3_f32 v21, v21, v13, v14                              // 000000002B10: D1D30015 043A1B15
	v_max3_f32 v21, v21, v15, v16                              // 000000002B18: D1D30015 04421F15
	s_nop 1                                                    // 000000002B20: BF800001
	v_max_f32_dpp v4, v21, v21 quad_perm:[1,0,3,2] row_mask:0xf bank_mask:0xf// 000000002B24: 16082AFA FF00B115
	s_nop 1                                                    // 000000002B2C: BF800001
	v_max_f32_dpp v4, v4, v4 quad_perm:[2,3,0,1] row_mask:0xf bank_mask:0xf// 000000002B30: 160808FA FF004E04
	s_nop 1                                                    // 000000002B38: BF800001
	v_max_f32_dpp v4, v4, v4 row_shr:4 row_mask:0xf bank_mask:0xf// 000000002B3C: 160808FA FF011404
	s_nop 1                                                    // 000000002B44: BF800001
	v_max_f32_dpp v4, v4, v4 row_shr:8 row_mask:0xf bank_mask:0xf// 000000002B48: 160808FA FF011804
	s_nop 1                                                    // 000000002B50: BF800001
	v_max_f32_dpp v4, v4, v4 row_bcast:15 row_mask:0xf bank_mask:0xf// 000000002B54: 160808FA FF014204
	s_nop 1                                                    // 000000002B5C: BF800001
	v_max_f32_dpp v4, v4, v4 row_bcast:31 row_mask:0xf bank_mask:0xf// 000000002B60: 160808FA FF014304
	s_nop 0                                                    // 000000002B68: BF800000
	v_readlane_b32 s20, v4, 63                                 // 000000002B6C: D2890014 00017F04
	v_mov_b32_e32 v21, s20                                     // 000000002B74: 7E2A0214
	v_add_f32_e32 v23, v23, v21                                // 000000002B78: 022E2B17
	v_cmp_eq_f32_e64 s[24:25], v21, v11                        // 000000002B7C: D0420018 00021715
	v_cmp_eq_f32_e64 s[26:27], v21, v12                        // 000000002B84: D042001A 00021915
	v_cmp_eq_f32_e64 s[28:29], v21, v13                        // 000000002B8C: D042001C 00021B15
	v_cmp_eq_f32_e64 s[30:31], v21, v14                        // 000000002B94: D042001E 00021D15
	v_cmp_eq_f32_e64 s[32:33], v21, v15                        // 000000002B9C: D0420020 00021F15
	v_cmp_eq_f32_e64 s[34:35], v21, v16                        // 000000002BA4: D0420022 00022115
	s_ff1_i32_b64 s36, s[24:25]                                // 000000002BAC: BEA41118
	s_ff1_i32_b64 s37, s[26:27]                                // 000000002BB0: BEA5111A
	s_ff1_i32_b64 s38, s[28:29]                                // 000000002BB4: BEA6111C
	s_ff1_i32_b64 s39, s[30:31]                                // 000000002BB8: BEA7111E
	s_ff1_i32_b64 s40, s[32:33]                                // 000000002BBC: BEA81120
	s_ff1_i32_b64 s41, s[34:35]                                // 000000002BC0: BEA91122
	v_readlane_b32 s20, v21, 0                                 // 000000002BC4: D2890014 00010115
	v_writelane_b32 v18, s20, 1                                // 000000002BCC: D28A0012 00010214
	s_mov_b32 s22, s36                                         // 000000002BD4: BE960024
	s_cmp_eq_u32 s36, -1                                       // 000000002BD8: BF06C124
	s_cselect_b32 s21, 1, 0                                    // 000000002BDC: 85158081
	s_cbranch_scc0 label_0413                                  // 000000002BE0: BF84001A
	s_add_u32 s49, s21, s49                                    // 000000002BE4: 80313115
	s_mov_b32 s22, s37                                         // 000000002BE8: BE960025
	s_cmp_eq_u32 s37, -1                                       // 000000002BEC: BF06C125
	s_cselect_b32 s21, 1, 0                                    // 000000002BF0: 85158081
	s_cbranch_scc0 label_0413                                  // 000000002BF4: BF840015
	s_add_u32 s49, s21, s49                                    // 000000002BF8: 80313115
	s_mov_b32 s22, s38                                         // 000000002BFC: BE960026
	s_cmp_eq_u32 s38, -1                                       // 000000002C00: BF06C126
	s_cselect_b32 s21, 1, 0                                    // 000000002C04: 85158081
	s_cbranch_scc0 label_0413                                  // 000000002C08: BF840010
	s_add_u32 s49, s21, s49                                    // 000000002C0C: 80313115
	s_mov_b32 s22, s39                                         // 000000002C10: BE960027
	s_cmp_eq_u32 s39, -1                                       // 000000002C14: BF06C127
	s_cselect_b32 s21, 1, 0                                    // 000000002C18: 85158081
	s_cbranch_scc0 label_0413                                  // 000000002C1C: BF84000B
	s_add_u32 s49, s21, s49                                    // 000000002C20: 80313115
	s_mov_b32 s22, s40                                         // 000000002C24: BE960028
	s_cmp_eq_u32 s40, -1                                       // 000000002C28: BF06C128
	s_cselect_b32 s21, 1, 0                                    // 000000002C2C: 85158081
	s_cbranch_scc0 label_0413                                  // 000000002C30: BF840006
	s_add_u32 s49, s21, s49                                    // 000000002C34: 80313115
	s_mov_b32 s22, s41                                         // 000000002C38: BE960029
	s_cmp_eq_u32 s41, -1                                       // 000000002C3C: BF06C129
	s_cselect_b32 s21, 1, 0                                    // 000000002C40: 85158081
	s_cbranch_scc0 label_0413                                  // 000000002C44: BF840001
	s_add_u32 s49, s21, s49                                    // 000000002C48: 80313115

0000000000002c4c <label_0413>:
	s_set_gpr_idx_on s49, gpr_idx(DST)                         // 000000002C4C: BF110831
	v_writelane_b32 v11, 0, s22                                // 000000002C50: D28A000B 00002C80
	s_set_gpr_idx_off                                          // 000000002C58: BF9C0000
	s_mul_i32 s49, 64, s49                                     // 000000002C5C: 923131C0
	s_add_u32 s49, s22, s49                                    // 000000002C60: 80313116
	v_writelane_b32 v17, s49, 1                                // 000000002C64: D28A0011 00010231
	v_max_f32_e32 v21, v11, v12                                // 000000002C6C: 162A190B
	v_max3_f32 v21, v21, v13, v14                              // 000000002C70: D1D30015 043A1B15
	v_max3_f32 v21, v21, v15, v16                              // 000000002C78: D1D30015 04421F15
	s_nop 1                                                    // 000000002C80: BF800001
	v_max_f32_dpp v4, v21, v21 quad_perm:[1,0,3,2] row_mask:0xf bank_mask:0xf// 000000002C84: 16082AFA FF00B115
	s_nop 1                                                    // 000000002C8C: BF800001
	v_max_f32_dpp v4, v4, v4 quad_perm:[2,3,0,1] row_mask:0xf bank_mask:0xf// 000000002C90: 160808FA FF004E04
	s_nop 1                                                    // 000000002C98: BF800001
	v_max_f32_dpp v4, v4, v4 row_shr:4 row_mask:0xf bank_mask:0xf// 000000002C9C: 160808FA FF011404
	s_nop 1                                                    // 000000002CA4: BF800001
	v_max_f32_dpp v4, v4, v4 row_shr:8 row_mask:0xf bank_mask:0xf// 000000002CA8: 160808FA FF011804
	s_nop 1                                                    // 000000002CB0: BF800001
	v_max_f32_dpp v4, v4, v4 row_bcast:15 row_mask:0xf bank_mask:0xf// 000000002CB4: 160808FA FF014204
	s_nop 1                                                    // 000000002CBC: BF800001
	v_max_f32_dpp v4, v4, v4 row_bcast:31 row_mask:0xf bank_mask:0xf// 000000002CC0: 160808FA FF014304
	s_nop 0                                                    // 000000002CC8: BF800000
	v_readlane_b32 s20, v4, 63                                 // 000000002CCC: D2890014 00017F04
	v_mov_b32_e32 v21, s20                                     // 000000002CD4: 7E2A0214
	v_add_f32_e32 v23, v23, v21                                // 000000002CD8: 022E2B17
	v_cmp_eq_f32_e64 s[24:25], v21, v11                        // 000000002CDC: D0420018 00021715
	v_cmp_eq_f32_e64 s[26:27], v21, v12                        // 000000002CE4: D042001A 00021915
	v_cmp_eq_f32_e64 s[28:29], v21, v13                        // 000000002CEC: D042001C 00021B15
	v_cmp_eq_f32_e64 s[30:31], v21, v14                        // 000000002CF4: D042001E 00021D15
	v_cmp_eq_f32_e64 s[32:33], v21, v15                        // 000000002CFC: D0420020 00021F15
	v_cmp_eq_f32_e64 s[34:35], v21, v16                        // 000000002D04: D0420022 00022115
	s_ff1_i32_b64 s36, s[24:25]                                // 000000002D0C: BEA41118
	s_ff1_i32_b64 s37, s[26:27]                                // 000000002D10: BEA5111A
	s_ff1_i32_b64 s38, s[28:29]                                // 000000002D14: BEA6111C
	s_ff1_i32_b64 s39, s[30:31]                                // 000000002D18: BEA7111E
	s_ff1_i32_b64 s40, s[32:33]                                // 000000002D1C: BEA81120
	s_ff1_i32_b64 s41, s[34:35]                                // 000000002D20: BEA91122
	v_readlane_b32 s20, v21, 0                                 // 000000002D24: D2890014 00010115
	v_writelane_b32 v18, s20, 2                                // 000000002D2C: D28A0012 00010414
	s_mov_b32 s22, s36                                         // 000000002D34: BE960024
	s_cmp_eq_u32 s36, -1                                       // 000000002D38: BF06C124
	s_cselect_b32 s21, 1, 0                                    // 000000002D3C: 85158081
	s_cbranch_scc0 label_046B                                  // 000000002D40: BF84001A
	s_add_u32 s50, s21, s50                                    // 000000002D44: 80323215
	s_mov_b32 s22, s37                                         // 000000002D48: BE960025
	s_cmp_eq_u32 s37, -1                                       // 000000002D4C: BF06C125
	s_cselect_b32 s21, 1, 0                                    // 000000002D50: 85158081
	s_cbranch_scc0 label_046B                                  // 000000002D54: BF840015
	s_add_u32 s50, s21, s50                                    // 000000002D58: 80323215
	s_mov_b32 s22, s38                                         // 000000002D5C: BE960026
	s_cmp_eq_u32 s38, -1                                       // 000000002D60: BF06C126
	s_cselect_b32 s21, 1, 0                                    // 000000002D64: 85158081
	s_cbranch_scc0 label_046B                                  // 000000002D68: BF840010
	s_add_u32 s50, s21, s50                                    // 000000002D6C: 80323215
	s_mov_b32 s22, s39                                         // 000000002D70: BE960027
	s_cmp_eq_u32 s39, -1                                       // 000000002D74: BF06C127
	s_cselect_b32 s21, 1, 0                                    // 000000002D78: 85158081
	s_cbranch_scc0 label_046B                                  // 000000002D7C: BF84000B
	s_add_u32 s50, s21, s50                                    // 000000002D80: 80323215
	s_mov_b32 s22, s40                                         // 000000002D84: BE960028
	s_cmp_eq_u32 s40, -1                                       // 000000002D88: BF06C128
	s_cselect_b32 s21, 1, 0                                    // 000000002D8C: 85158081
	s_cbranch_scc0 label_046B                                  // 000000002D90: BF840006
	s_add_u32 s50, s21, s50                                    // 000000002D94: 80323215
	s_mov_b32 s22, s41                                         // 000000002D98: BE960029
	s_cmp_eq_u32 s41, -1                                       // 000000002D9C: BF06C129
	s_cselect_b32 s21, 1, 0                                    // 000000002DA0: 85158081
	s_cbranch_scc0 label_046B                                  // 000000002DA4: BF840001
	s_add_u32 s50, s21, s50                                    // 000000002DA8: 80323215

0000000000002dac <label_046B>:
	s_set_gpr_idx_on s50, gpr_idx(DST)                         // 000000002DAC: BF110832
	v_writelane_b32 v11, 0, s22                                // 000000002DB0: D28A000B 00002C80
	s_set_gpr_idx_off                                          // 000000002DB8: BF9C0000
	s_mul_i32 s50, 64, s50                                     // 000000002DBC: 923232C0
	s_add_u32 s50, s22, s50                                    // 000000002DC0: 80323216
	v_writelane_b32 v17, s50, 2                                // 000000002DC4: D28A0011 00010432
	v_max_f32_e32 v21, v11, v12                                // 000000002DCC: 162A190B
	v_max3_f32 v21, v21, v13, v14                              // 000000002DD0: D1D30015 043A1B15
	v_max3_f32 v21, v21, v15, v16                              // 000000002DD8: D1D30015 04421F15
	s_nop 1                                                    // 000000002DE0: BF800001
	v_max_f32_dpp v4, v21, v21 quad_perm:[1,0,3,2] row_mask:0xf bank_mask:0xf// 000000002DE4: 16082AFA FF00B115
	s_nop 1                                                    // 000000002DEC: BF800001
	v_max_f32_dpp v4, v4, v4 quad_perm:[2,3,0,1] row_mask:0xf bank_mask:0xf// 000000002DF0: 160808FA FF004E04
	s_nop 1                                                    // 000000002DF8: BF800001
	v_max_f32_dpp v4, v4, v4 row_shr:4 row_mask:0xf bank_mask:0xf// 000000002DFC: 160808FA FF011404
	s_nop 1                                                    // 000000002E04: BF800001
	v_max_f32_dpp v4, v4, v4 row_shr:8 row_mask:0xf bank_mask:0xf// 000000002E08: 160808FA FF011804
	s_nop 1                                                    // 000000002E10: BF800001
	v_max_f32_dpp v4, v4, v4 row_bcast:15 row_mask:0xf bank_mask:0xf// 000000002E14: 160808FA FF014204
	s_nop 1                                                    // 000000002E1C: BF800001
	v_max_f32_dpp v4, v4, v4 row_bcast:31 row_mask:0xf bank_mask:0xf// 000000002E20: 160808FA FF014304
	s_nop 0                                                    // 000000002E28: BF800000
	v_readlane_b32 s20, v4, 63                                 // 000000002E2C: D2890014 00017F04
	v_mov_b32_e32 v21, s20                                     // 000000002E34: 7E2A0214
	v_add_f32_e32 v23, v23, v21                                // 000000002E38: 022E2B17
	v_cmp_eq_f32_e64 s[24:25], v21, v11                        // 000000002E3C: D0420018 00021715
	v_cmp_eq_f32_e64 s[26:27], v21, v12                        // 000000002E44: D042001A 00021915
	v_cmp_eq_f32_e64 s[28:29], v21, v13                        // 000000002E4C: D042001C 00021B15
	v_cmp_eq_f32_e64 s[30:31], v21, v14                        // 000000002E54: D042001E 00021D15
	v_cmp_eq_f32_e64 s[32:33], v21, v15                        // 000000002E5C: D0420020 00021F15
	v_cmp_eq_f32_e64 s[34:35], v21, v16                        // 000000002E64: D0420022 00022115
	s_ff1_i32_b64 s36, s[24:25]                                // 000000002E6C: BEA41118
	s_ff1_i32_b64 s37, s[26:27]                                // 000000002E70: BEA5111A
	s_ff1_i32_b64 s38, s[28:29]                                // 000000002E74: BEA6111C
	s_ff1_i32_b64 s39, s[30:31]                                // 000000002E78: BEA7111E
	s_ff1_i32_b64 s40, s[32:33]                                // 000000002E7C: BEA81120
	s_ff1_i32_b64 s41, s[34:35]                                // 000000002E80: BEA91122
	v_readlane_b32 s20, v21, 0                                 // 000000002E84: D2890014 00010115
	v_writelane_b32 v18, s20, 3                                // 000000002E8C: D28A0012 00010614
	s_mov_b32 s22, s36                                         // 000000002E94: BE960024
	s_cmp_eq_u32 s36, -1                                       // 000000002E98: BF06C124
	s_cselect_b32 s21, 1, 0                                    // 000000002E9C: 85158081
	s_cbranch_scc0 label_04C3                                  // 000000002EA0: BF84001A
	s_add_u32 s51, s21, s51                                    // 000000002EA4: 80333315
	s_mov_b32 s22, s37                                         // 000000002EA8: BE960025
	s_cmp_eq_u32 s37, -1                                       // 000000002EAC: BF06C125
	s_cselect_b32 s21, 1, 0                                    // 000000002EB0: 85158081
	s_cbranch_scc0 label_04C3                                  // 000000002EB4: BF840015
	s_add_u32 s51, s21, s51                                    // 000000002EB8: 80333315
	s_mov_b32 s22, s38                                         // 000000002EBC: BE960026
	s_cmp_eq_u32 s38, -1                                       // 000000002EC0: BF06C126
	s_cselect_b32 s21, 1, 0                                    // 000000002EC4: 85158081
	s_cbranch_scc0 label_04C3                                  // 000000002EC8: BF840010
	s_add_u32 s51, s21, s51                                    // 000000002ECC: 80333315
	s_mov_b32 s22, s39                                         // 000000002ED0: BE960027
	s_cmp_eq_u32 s39, -1                                       // 000000002ED4: BF06C127
	s_cselect_b32 s21, 1, 0                                    // 000000002ED8: 85158081
	s_cbranch_scc0 label_04C3                                  // 000000002EDC: BF84000B
	s_add_u32 s51, s21, s51                                    // 000000002EE0: 80333315
	s_mov_b32 s22, s40                                         // 000000002EE4: BE960028
	s_cmp_eq_u32 s40, -1                                       // 000000002EE8: BF06C128
	s_cselect_b32 s21, 1, 0                                    // 000000002EEC: 85158081
	s_cbranch_scc0 label_04C3                                  // 000000002EF0: BF840006
	s_add_u32 s51, s21, s51                                    // 000000002EF4: 80333315
	s_mov_b32 s22, s41                                         // 000000002EF8: BE960029
	s_cmp_eq_u32 s41, -1                                       // 000000002EFC: BF06C129
	s_cselect_b32 s21, 1, 0                                    // 000000002F00: 85158081
	s_cbranch_scc0 label_04C3                                  // 000000002F04: BF840001
	s_add_u32 s51, s21, s51                                    // 000000002F08: 80333315

0000000000002f0c <label_04C3>:
	s_set_gpr_idx_on s51, gpr_idx(DST)                         // 000000002F0C: BF110833
	v_writelane_b32 v11, 0, s22                                // 000000002F10: D28A000B 00002C80
	s_set_gpr_idx_off                                          // 000000002F18: BF9C0000
	s_mul_i32 s51, 64, s51                                     // 000000002F1C: 923333C0
	s_add_u32 s51, s22, s51                                    // 000000002F20: 80333316
	v_writelane_b32 v17, s51, 3                                // 000000002F24: D28A0011 00010633
	v_max_f32_e32 v21, v11, v12                                // 000000002F2C: 162A190B
	v_max3_f32 v21, v21, v13, v14                              // 000000002F30: D1D30015 043A1B15
	v_max3_f32 v21, v21, v15, v16                              // 000000002F38: D1D30015 04421F15
	s_nop 1                                                    // 000000002F40: BF800001
	v_max_f32_dpp v4, v21, v21 quad_perm:[1,0,3,2] row_mask:0xf bank_mask:0xf// 000000002F44: 16082AFA FF00B115
	s_nop 1                                                    // 000000002F4C: BF800001
	v_max_f32_dpp v4, v4, v4 quad_perm:[2,3,0,1] row_mask:0xf bank_mask:0xf// 000000002F50: 160808FA FF004E04
	s_nop 1                                                    // 000000002F58: BF800001
	v_max_f32_dpp v4, v4, v4 row_shr:4 row_mask:0xf bank_mask:0xf// 000000002F5C: 160808FA FF011404
	s_nop 1                                                    // 000000002F64: BF800001
	v_max_f32_dpp v4, v4, v4 row_shr:8 row_mask:0xf bank_mask:0xf// 000000002F68: 160808FA FF011804
	s_nop 1                                                    // 000000002F70: BF800001
	v_max_f32_dpp v4, v4, v4 row_bcast:15 row_mask:0xf bank_mask:0xf// 000000002F74: 160808FA FF014204
	s_nop 1                                                    // 000000002F7C: BF800001
	v_max_f32_dpp v4, v4, v4 row_bcast:31 row_mask:0xf bank_mask:0xf// 000000002F80: 160808FA FF014304
	s_nop 0                                                    // 000000002F88: BF800000
	v_readlane_b32 s20, v4, 63                                 // 000000002F8C: D2890014 00017F04
	v_mov_b32_e32 v21, s20                                     // 000000002F94: 7E2A0214
	v_add_f32_e32 v23, v23, v21                                // 000000002F98: 022E2B17
	v_cmp_eq_f32_e64 s[24:25], v21, v11                        // 000000002F9C: D0420018 00021715
	v_cmp_eq_f32_e64 s[26:27], v21, v12                        // 000000002FA4: D042001A 00021915
	v_cmp_eq_f32_e64 s[28:29], v21, v13                        // 000000002FAC: D042001C 00021B15
	v_cmp_eq_f32_e64 s[30:31], v21, v14                        // 000000002FB4: D042001E 00021D15
	v_cmp_eq_f32_e64 s[32:33], v21, v15                        // 000000002FBC: D0420020 00021F15
	v_cmp_eq_f32_e64 s[34:35], v21, v16                        // 000000002FC4: D0420022 00022115
	s_ff1_i32_b64 s36, s[24:25]                                // 000000002FCC: BEA41118
	s_ff1_i32_b64 s37, s[26:27]                                // 000000002FD0: BEA5111A
	s_ff1_i32_b64 s38, s[28:29]                                // 000000002FD4: BEA6111C
	s_ff1_i32_b64 s39, s[30:31]                                // 000000002FD8: BEA7111E
	s_ff1_i32_b64 s40, s[32:33]                                // 000000002FDC: BEA81120
	s_ff1_i32_b64 s41, s[34:35]                                // 000000002FE0: BEA91122
	v_readlane_b32 s20, v21, 0                                 // 000000002FE4: D2890014 00010115
	v_writelane_b32 v18, s20, 4                                // 000000002FEC: D28A0012 00010814
	s_mov_b32 s22, s36                                         // 000000002FF4: BE960024
	s_cmp_eq_u32 s36, -1                                       // 000000002FF8: BF06C124
	s_cselect_b32 s21, 1, 0                                    // 000000002FFC: 85158081
	s_cbranch_scc0 label_051B                                  // 000000003000: BF84001A
	s_add_u32 s52, s21, s52                                    // 000000003004: 80343415
	s_mov_b32 s22, s37                                         // 000000003008: BE960025
	s_cmp_eq_u32 s37, -1                                       // 00000000300C: BF06C125
	s_cselect_b32 s21, 1, 0                                    // 000000003010: 85158081
	s_cbranch_scc0 label_051B                                  // 000000003014: BF840015
	s_add_u32 s52, s21, s52                                    // 000000003018: 80343415
	s_mov_b32 s22, s38                                         // 00000000301C: BE960026
	s_cmp_eq_u32 s38, -1                                       // 000000003020: BF06C126
	s_cselect_b32 s21, 1, 0                                    // 000000003024: 85158081
	s_cbranch_scc0 label_051B                                  // 000000003028: BF840010
	s_add_u32 s52, s21, s52                                    // 00000000302C: 80343415
	s_mov_b32 s22, s39                                         // 000000003030: BE960027
	s_cmp_eq_u32 s39, -1                                       // 000000003034: BF06C127
	s_cselect_b32 s21, 1, 0                                    // 000000003038: 85158081
	s_cbranch_scc0 label_051B                                  // 00000000303C: BF84000B
	s_add_u32 s52, s21, s52                                    // 000000003040: 80343415
	s_mov_b32 s22, s40                                         // 000000003044: BE960028
	s_cmp_eq_u32 s40, -1                                       // 000000003048: BF06C128
	s_cselect_b32 s21, 1, 0                                    // 00000000304C: 85158081
	s_cbranch_scc0 label_051B                                  // 000000003050: BF840006
	s_add_u32 s52, s21, s52                                    // 000000003054: 80343415
	s_mov_b32 s22, s41                                         // 000000003058: BE960029
	s_cmp_eq_u32 s41, -1                                       // 00000000305C: BF06C129
	s_cselect_b32 s21, 1, 0                                    // 000000003060: 85158081
	s_cbranch_scc0 label_051B                                  // 000000003064: BF840001
	s_add_u32 s52, s21, s52                                    // 000000003068: 80343415

000000000000306c <label_051B>:
	s_set_gpr_idx_on s52, gpr_idx(DST)                         // 00000000306C: BF110834
	v_writelane_b32 v11, 0, s22                                // 000000003070: D28A000B 00002C80
	s_set_gpr_idx_off                                          // 000000003078: BF9C0000
	s_mul_i32 s52, 64, s52                                     // 00000000307C: 923434C0
	s_add_u32 s52, s22, s52                                    // 000000003080: 80343416
	v_writelane_b32 v17, s52, 4                                // 000000003084: D28A0011 00010834
	v_max_f32_e32 v21, v11, v12                                // 00000000308C: 162A190B
	v_max3_f32 v21, v21, v13, v14                              // 000000003090: D1D30015 043A1B15
	v_max3_f32 v21, v21, v15, v16                              // 000000003098: D1D30015 04421F15
	s_nop 1                                                    // 0000000030A0: BF800001
	v_max_f32_dpp v4, v21, v21 quad_perm:[1,0,3,2] row_mask:0xf bank_mask:0xf// 0000000030A4: 16082AFA FF00B115
	s_nop 1                                                    // 0000000030AC: BF800001
	v_max_f32_dpp v4, v4, v4 quad_perm:[2,3,0,1] row_mask:0xf bank_mask:0xf// 0000000030B0: 160808FA FF004E04
	s_nop 1                                                    // 0000000030B8: BF800001
	v_max_f32_dpp v4, v4, v4 row_shr:4 row_mask:0xf bank_mask:0xf// 0000000030BC: 160808FA FF011404
	s_nop 1                                                    // 0000000030C4: BF800001
	v_max_f32_dpp v4, v4, v4 row_shr:8 row_mask:0xf bank_mask:0xf// 0000000030C8: 160808FA FF011804
	s_nop 1                                                    // 0000000030D0: BF800001
	v_max_f32_dpp v4, v4, v4 row_bcast:15 row_mask:0xf bank_mask:0xf// 0000000030D4: 160808FA FF014204
	s_nop 1                                                    // 0000000030DC: BF800001
	v_max_f32_dpp v4, v4, v4 row_bcast:31 row_mask:0xf bank_mask:0xf// 0000000030E0: 160808FA FF014304
	s_nop 0                                                    // 0000000030E8: BF800000
	v_readlane_b32 s20, v4, 63                                 // 0000000030EC: D2890014 00017F04
	v_mov_b32_e32 v21, s20                                     // 0000000030F4: 7E2A0214
	v_add_f32_e32 v23, v23, v21                                // 0000000030F8: 022E2B17
	v_cmp_eq_f32_e64 s[24:25], v21, v11                        // 0000000030FC: D0420018 00021715
	v_cmp_eq_f32_e64 s[26:27], v21, v12                        // 000000003104: D042001A 00021915
	v_cmp_eq_f32_e64 s[28:29], v21, v13                        // 00000000310C: D042001C 00021B15
	v_cmp_eq_f32_e64 s[30:31], v21, v14                        // 000000003114: D042001E 00021D15
	v_cmp_eq_f32_e64 s[32:33], v21, v15                        // 00000000311C: D0420020 00021F15
	v_cmp_eq_f32_e64 s[34:35], v21, v16                        // 000000003124: D0420022 00022115
	s_ff1_i32_b64 s36, s[24:25]                                // 00000000312C: BEA41118
	s_ff1_i32_b64 s37, s[26:27]                                // 000000003130: BEA5111A
	s_ff1_i32_b64 s38, s[28:29]                                // 000000003134: BEA6111C
	s_ff1_i32_b64 s39, s[30:31]                                // 000000003138: BEA7111E
	s_ff1_i32_b64 s40, s[32:33]                                // 00000000313C: BEA81120
	s_ff1_i32_b64 s41, s[34:35]                                // 000000003140: BEA91122
	v_readlane_b32 s20, v21, 0                                 // 000000003144: D2890014 00010115
	v_writelane_b32 v18, s20, 5                                // 00000000314C: D28A0012 00010A14
	s_mov_b32 s22, s36                                         // 000000003154: BE960024
	s_cmp_eq_u32 s36, -1                                       // 000000003158: BF06C124
	s_cselect_b32 s21, 1, 0                                    // 00000000315C: 85158081
	s_cbranch_scc0 label_0573                                  // 000000003160: BF84001A
	s_add_u32 s53, s21, s53                                    // 000000003164: 80353515
	s_mov_b32 s22, s37                                         // 000000003168: BE960025
	s_cmp_eq_u32 s37, -1                                       // 00000000316C: BF06C125
	s_cselect_b32 s21, 1, 0                                    // 000000003170: 85158081
	s_cbranch_scc0 label_0573                                  // 000000003174: BF840015
	s_add_u32 s53, s21, s53                                    // 000000003178: 80353515
	s_mov_b32 s22, s38                                         // 00000000317C: BE960026
	s_cmp_eq_u32 s38, -1                                       // 000000003180: BF06C126
	s_cselect_b32 s21, 1, 0                                    // 000000003184: 85158081
	s_cbranch_scc0 label_0573                                  // 000000003188: BF840010
	s_add_u32 s53, s21, s53                                    // 00000000318C: 80353515
	s_mov_b32 s22, s39                                         // 000000003190: BE960027
	s_cmp_eq_u32 s39, -1                                       // 000000003194: BF06C127
	s_cselect_b32 s21, 1, 0                                    // 000000003198: 85158081
	s_cbranch_scc0 label_0573                                  // 00000000319C: BF84000B
	s_add_u32 s53, s21, s53                                    // 0000000031A0: 80353515
	s_mov_b32 s22, s40                                         // 0000000031A4: BE960028
	s_cmp_eq_u32 s40, -1                                       // 0000000031A8: BF06C128
	s_cselect_b32 s21, 1, 0                                    // 0000000031AC: 85158081
	s_cbranch_scc0 label_0573                                  // 0000000031B0: BF840006
	s_add_u32 s53, s21, s53                                    // 0000000031B4: 80353515
	s_mov_b32 s22, s41                                         // 0000000031B8: BE960029
	s_cmp_eq_u32 s41, -1                                       // 0000000031BC: BF06C129
	s_cselect_b32 s21, 1, 0                                    // 0000000031C0: 85158081
	s_cbranch_scc0 label_0573                                  // 0000000031C4: BF840001
	s_add_u32 s53, s21, s53                                    // 0000000031C8: 80353515

00000000000031cc <label_0573>:
	s_set_gpr_idx_on s53, gpr_idx(DST)                         // 0000000031CC: BF110835
	v_writelane_b32 v11, 0, s22                                // 0000000031D0: D28A000B 00002C80
	s_set_gpr_idx_off                                          // 0000000031D8: BF9C0000
	s_mul_i32 s53, 64, s53                                     // 0000000031DC: 923535C0
	s_add_u32 s53, s22, s53                                    // 0000000031E0: 80353516
	v_writelane_b32 v17, s53, 5                                // 0000000031E4: D28A0011 00010A35
	v_max_f32_e32 v21, v11, v12                                // 0000000031EC: 162A190B
	v_max3_f32 v21, v21, v13, v14                              // 0000000031F0: D1D30015 043A1B15
	v_max3_f32 v21, v21, v15, v16                              // 0000000031F8: D1D30015 04421F15
	s_nop 1                                                    // 000000003200: BF800001
	v_max_f32_dpp v4, v21, v21 quad_perm:[1,0,3,2] row_mask:0xf bank_mask:0xf// 000000003204: 16082AFA FF00B115
	s_nop 1                                                    // 00000000320C: BF800001
	v_max_f32_dpp v4, v4, v4 quad_perm:[2,3,0,1] row_mask:0xf bank_mask:0xf// 000000003210: 160808FA FF004E04
	s_nop 1                                                    // 000000003218: BF800001
	v_max_f32_dpp v4, v4, v4 row_shr:4 row_mask:0xf bank_mask:0xf// 00000000321C: 160808FA FF011404
	s_nop 1                                                    // 000000003224: BF800001
	v_max_f32_dpp v4, v4, v4 row_shr:8 row_mask:0xf bank_mask:0xf// 000000003228: 160808FA FF011804
	s_nop 1                                                    // 000000003230: BF800001
	v_max_f32_dpp v4, v4, v4 row_bcast:15 row_mask:0xf bank_mask:0xf// 000000003234: 160808FA FF014204
	s_nop 1                                                    // 00000000323C: BF800001
	v_max_f32_dpp v4, v4, v4 row_bcast:31 row_mask:0xf bank_mask:0xf// 000000003240: 160808FA FF014304
	s_nop 0                                                    // 000000003248: BF800000
	v_readlane_b32 s20, v4, 63                                 // 00000000324C: D2890014 00017F04
	v_mov_b32_e32 v21, s20                                     // 000000003254: 7E2A0214
	v_add_f32_e32 v23, v23, v21                                // 000000003258: 022E2B17
	v_cmp_eq_f32_e64 s[24:25], v21, v11                        // 00000000325C: D0420018 00021715
	v_cmp_eq_f32_e64 s[26:27], v21, v12                        // 000000003264: D042001A 00021915
	v_cmp_eq_f32_e64 s[28:29], v21, v13                        // 00000000326C: D042001C 00021B15
	v_cmp_eq_f32_e64 s[30:31], v21, v14                        // 000000003274: D042001E 00021D15
	v_cmp_eq_f32_e64 s[32:33], v21, v15                        // 00000000327C: D0420020 00021F15
	v_cmp_eq_f32_e64 s[34:35], v21, v16                        // 000000003284: D0420022 00022115
	s_ff1_i32_b64 s36, s[24:25]                                // 00000000328C: BEA41118
	s_ff1_i32_b64 s37, s[26:27]                                // 000000003290: BEA5111A
	s_ff1_i32_b64 s38, s[28:29]                                // 000000003294: BEA6111C
	s_ff1_i32_b64 s39, s[30:31]                                // 000000003298: BEA7111E
	s_ff1_i32_b64 s40, s[32:33]                                // 00000000329C: BEA81120
	s_ff1_i32_b64 s41, s[34:35]                                // 0000000032A0: BEA91122
	v_readlane_b32 s20, v21, 0                                 // 0000000032A4: D2890014 00010115
	v_writelane_b32 v18, s20, 6                                // 0000000032AC: D28A0012 00010C14
	s_mov_b32 s22, s36                                         // 0000000032B4: BE960024
	s_cmp_eq_u32 s36, -1                                       // 0000000032B8: BF06C124
	s_cselect_b32 s21, 1, 0                                    // 0000000032BC: 85158081
	s_cbranch_scc0 label_05CB                                  // 0000000032C0: BF84001A
	s_add_u32 s54, s21, s54                                    // 0000000032C4: 80363615
	s_mov_b32 s22, s37                                         // 0000000032C8: BE960025
	s_cmp_eq_u32 s37, -1                                       // 0000000032CC: BF06C125
	s_cselect_b32 s21, 1, 0                                    // 0000000032D0: 85158081
	s_cbranch_scc0 label_05CB                                  // 0000000032D4: BF840015
	s_add_u32 s54, s21, s54                                    // 0000000032D8: 80363615
	s_mov_b32 s22, s38                                         // 0000000032DC: BE960026
	s_cmp_eq_u32 s38, -1                                       // 0000000032E0: BF06C126
	s_cselect_b32 s21, 1, 0                                    // 0000000032E4: 85158081
	s_cbranch_scc0 label_05CB                                  // 0000000032E8: BF840010
	s_add_u32 s54, s21, s54                                    // 0000000032EC: 80363615
	s_mov_b32 s22, s39                                         // 0000000032F0: BE960027
	s_cmp_eq_u32 s39, -1                                       // 0000000032F4: BF06C127
	s_cselect_b32 s21, 1, 0                                    // 0000000032F8: 85158081
	s_cbranch_scc0 label_05CB                                  // 0000000032FC: BF84000B
	s_add_u32 s54, s21, s54                                    // 000000003300: 80363615
	s_mov_b32 s22, s40                                         // 000000003304: BE960028
	s_cmp_eq_u32 s40, -1                                       // 000000003308: BF06C128
	s_cselect_b32 s21, 1, 0                                    // 00000000330C: 85158081
	s_cbranch_scc0 label_05CB                                  // 000000003310: BF840006
	s_add_u32 s54, s21, s54                                    // 000000003314: 80363615
	s_mov_b32 s22, s41                                         // 000000003318: BE960029
	s_cmp_eq_u32 s41, -1                                       // 00000000331C: BF06C129
	s_cselect_b32 s21, 1, 0                                    // 000000003320: 85158081
	s_cbranch_scc0 label_05CB                                  // 000000003324: BF840001
	s_add_u32 s54, s21, s54                                    // 000000003328: 80363615

000000000000332c <label_05CB>:
	s_set_gpr_idx_on s54, gpr_idx(DST)                         // 00000000332C: BF110836
	v_writelane_b32 v11, 0, s22                                // 000000003330: D28A000B 00002C80
	s_set_gpr_idx_off                                          // 000000003338: BF9C0000
	s_mul_i32 s54, 64, s54                                     // 00000000333C: 923636C0
	s_add_u32 s54, s22, s54                                    // 000000003340: 80363616
	v_writelane_b32 v17, s54, 6                                // 000000003344: D28A0011 00010C36
	v_max_f32_e32 v21, v11, v12                                // 00000000334C: 162A190B
	v_max3_f32 v21, v21, v13, v14                              // 000000003350: D1D30015 043A1B15
	v_max3_f32 v21, v21, v15, v16                              // 000000003358: D1D30015 04421F15
	s_nop 1                                                    // 000000003360: BF800001
	v_max_f32_dpp v4, v21, v21 quad_perm:[1,0,3,2] row_mask:0xf bank_mask:0xf// 000000003364: 16082AFA FF00B115
	s_nop 1                                                    // 00000000336C: BF800001
	v_max_f32_dpp v4, v4, v4 quad_perm:[2,3,0,1] row_mask:0xf bank_mask:0xf// 000000003370: 160808FA FF004E04
	s_nop 1                                                    // 000000003378: BF800001
	v_max_f32_dpp v4, v4, v4 row_shr:4 row_mask:0xf bank_mask:0xf// 00000000337C: 160808FA FF011404
	s_nop 1                                                    // 000000003384: BF800001
	v_max_f32_dpp v4, v4, v4 row_shr:8 row_mask:0xf bank_mask:0xf// 000000003388: 160808FA FF011804
	s_nop 1                                                    // 000000003390: BF800001
	v_max_f32_dpp v4, v4, v4 row_bcast:15 row_mask:0xf bank_mask:0xf// 000000003394: 160808FA FF014204
	s_nop 1                                                    // 00000000339C: BF800001
	v_max_f32_dpp v4, v4, v4 row_bcast:31 row_mask:0xf bank_mask:0xf// 0000000033A0: 160808FA FF014304
	s_nop 0                                                    // 0000000033A8: BF800000
	v_readlane_b32 s20, v4, 63                                 // 0000000033AC: D2890014 00017F04
	v_mov_b32_e32 v21, s20                                     // 0000000033B4: 7E2A0214
	v_add_f32_e32 v23, v23, v21                                // 0000000033B8: 022E2B17
	v_cmp_eq_f32_e64 s[24:25], v21, v11                        // 0000000033BC: D0420018 00021715
	v_cmp_eq_f32_e64 s[26:27], v21, v12                        // 0000000033C4: D042001A 00021915
	v_cmp_eq_f32_e64 s[28:29], v21, v13                        // 0000000033CC: D042001C 00021B15
	v_cmp_eq_f32_e64 s[30:31], v21, v14                        // 0000000033D4: D042001E 00021D15
	v_cmp_eq_f32_e64 s[32:33], v21, v15                        // 0000000033DC: D0420020 00021F15
	v_cmp_eq_f32_e64 s[34:35], v21, v16                        // 0000000033E4: D0420022 00022115
	s_ff1_i32_b64 s36, s[24:25]                                // 0000000033EC: BEA41118
	s_ff1_i32_b64 s37, s[26:27]                                // 0000000033F0: BEA5111A
	s_ff1_i32_b64 s38, s[28:29]                                // 0000000033F4: BEA6111C
	s_ff1_i32_b64 s39, s[30:31]                                // 0000000033F8: BEA7111E
	s_ff1_i32_b64 s40, s[32:33]                                // 0000000033FC: BEA81120
	s_ff1_i32_b64 s41, s[34:35]                                // 000000003400: BEA91122
	v_readlane_b32 s20, v21, 0                                 // 000000003404: D2890014 00010115
	v_writelane_b32 v18, s20, 7                                // 00000000340C: D28A0012 00010E14
	s_mov_b32 s22, s36                                         // 000000003414: BE960024
	s_cmp_eq_u32 s36, -1                                       // 000000003418: BF06C124
	s_cselect_b32 s21, 1, 0                                    // 00000000341C: 85158081
	s_cbranch_scc0 label_0623                                  // 000000003420: BF84001A
	s_add_u32 s55, s21, s55                                    // 000000003424: 80373715
	s_mov_b32 s22, s37                                         // 000000003428: BE960025
	s_cmp_eq_u32 s37, -1                                       // 00000000342C: BF06C125
	s_cselect_b32 s21, 1, 0                                    // 000000003430: 85158081
	s_cbranch_scc0 label_0623                                  // 000000003434: BF840015
	s_add_u32 s55, s21, s55                                    // 000000003438: 80373715
	s_mov_b32 s22, s38                                         // 00000000343C: BE960026
	s_cmp_eq_u32 s38, -1                                       // 000000003440: BF06C126
	s_cselect_b32 s21, 1, 0                                    // 000000003444: 85158081
	s_cbranch_scc0 label_0623                                  // 000000003448: BF840010
	s_add_u32 s55, s21, s55                                    // 00000000344C: 80373715
	s_mov_b32 s22, s39                                         // 000000003450: BE960027
	s_cmp_eq_u32 s39, -1                                       // 000000003454: BF06C127
	s_cselect_b32 s21, 1, 0                                    // 000000003458: 85158081
	s_cbranch_scc0 label_0623                                  // 00000000345C: BF84000B
	s_add_u32 s55, s21, s55                                    // 000000003460: 80373715
	s_mov_b32 s22, s40                                         // 000000003464: BE960028
	s_cmp_eq_u32 s40, -1                                       // 000000003468: BF06C128
	s_cselect_b32 s21, 1, 0                                    // 00000000346C: 85158081
	s_cbranch_scc0 label_0623                                  // 000000003470: BF840006
	s_add_u32 s55, s21, s55                                    // 000000003474: 80373715
	s_mov_b32 s22, s41                                         // 000000003478: BE960029
	s_cmp_eq_u32 s41, -1                                       // 00000000347C: BF06C129
	s_cselect_b32 s21, 1, 0                                    // 000000003480: 85158081
	s_cbranch_scc0 label_0623                                  // 000000003484: BF840001
	s_add_u32 s55, s21, s55                                    // 000000003488: 80373715

000000000000348c <label_0623>:
	s_set_gpr_idx_on s55, gpr_idx(DST)                         // 00000000348C: BF110837
	v_writelane_b32 v11, 0, s22                                // 000000003490: D28A000B 00002C80
	s_set_gpr_idx_off                                          // 000000003498: BF9C0000
	s_mul_i32 s55, 64, s55                                     // 00000000349C: 923737C0
	s_add_u32 s55, s22, s55                                    // 0000000034A0: 80373716
	v_writelane_b32 v17, s55, 7                                // 0000000034A4: D28A0011 00010E37
	s_bfm_b64 exec, s18, 0                                     // 0000000034AC: 91FE8012
	buffer_store_dword v17, v9, s[4:7], 0 offen                // 0000000034B0: E0701000 80011109
	v_rcp_f32_e32 v23, v23                                     // 0000000034B8: 7E2E4517
	s_nop 0                                                    // 0000000034BC: BF800000
	v_mul_f32_e32 v18, v18, v23                                // 0000000034C0: 0A242F12
	buffer_store_dword v18, v10, s[8:11], 0 offen              // 0000000034C4: E0701000 8002120A

00000000000034cc <label_0633>:
	s_waitcnt vmcnt(0) expcnt(0) lgkmcnt(0)                    // 0000000034CC: BF8C0000
	s_endpgm                                                   // 0000000034D0: BF810000
